;; amdgpu-corpus repo=ROCm/rocBLAS kind=compiled arch=gfx1250 opt=O3
	.amdgcn_target "amdgcn-amd-amdhsa--gfx1250"
	.amdhsa_code_object_version 6
	.section	.text._ZL40rocblas_copy_triangular_syrk_herk_kernelILb1ELb1ELb0EfPfLi16ELi16EEviT3_ilPT2_i,"axG",@progbits,_ZL40rocblas_copy_triangular_syrk_herk_kernelILb1ELb1ELb0EfPfLi16ELi16EEviT3_ilPT2_i,comdat
	.globl	_ZL40rocblas_copy_triangular_syrk_herk_kernelILb1ELb1ELb0EfPfLi16ELi16EEviT3_ilPT2_i ; -- Begin function _ZL40rocblas_copy_triangular_syrk_herk_kernelILb1ELb1ELb0EfPfLi16ELi16EEviT3_ilPT2_i
	.p2align	8
	.type	_ZL40rocblas_copy_triangular_syrk_herk_kernelILb1ELb1ELb0EfPfLi16ELi16EEviT3_ilPT2_i,@function
_ZL40rocblas_copy_triangular_syrk_herk_kernelILb1ELb1ELb0EfPfLi16ELi16EEviT3_ilPT2_i: ; @_ZL40rocblas_copy_triangular_syrk_herk_kernelILb1ELb1ELb0EfPfLi16ELi16EEviT3_ilPT2_i
; %bb.0:
	s_load_b32 s11, s[0:1], 0x28
	s_bfe_u32 s2, ttmp6, 0x40014
	s_lshr_b32 s3, ttmp7, 16
	s_add_co_i32 s2, s2, 1
	s_bfe_u32 s5, ttmp6, 0x40008
	s_mul_i32 s2, s3, s2
	s_getreg_b32 s4, hwreg(HW_REG_IB_STS2, 6, 4)
	s_add_co_i32 s5, s5, s2
	s_cmp_eq_u32 s4, 0
	s_cselect_b32 s2, s3, s5
	s_mov_b32 s3, 0
	s_wait_kmcnt 0x0
	s_cmp_ge_u32 s2, s11
	s_cbranch_scc1 .LBB0_5
; %bb.1:
	s_clause 0x2
	s_load_b32 s14, s[0:1], 0x0
	s_load_b96 s[8:10], s[0:1], 0x8
	s_load_b32 s16, s[0:1], 0x3c
	s_bfe_u32 s12, ttmp6, 0x4000c
	s_bfe_u32 s5, ttmp6, 0x40010
	s_add_co_i32 s12, s12, 1
	s_and_b32 s17, ttmp7, 0xffff
	s_mul_i32 s19, ttmp9, s12
	s_add_co_i32 s5, s5, 1
	s_bfe_u32 s6, ttmp6, 0x40004
	s_mul_i32 s5, s17, s5
	s_mov_b32 s7, s3
	s_add_co_i32 s20, s6, s5
	s_and_b32 s18, ttmp6, 15
	v_and_b32_e32 v1, 0x3ff, v0
	s_add_co_i32 s18, s18, s19
	v_bfe_u32 v0, v0, 10, 10
	s_wait_kmcnt 0x0
	s_add_co_i32 s12, s14, -1
	s_ashr_i32 s15, s14, 31
	s_ashr_i32 s13, s12, 31
	;; [unrolled: 1-line block ×3, first 2 shown]
	s_mul_u64 s[12:13], s[12:13], s[14:15]
	s_lshr_b32 s15, s16, 16
	s_lshr_b32 s6, s13, 31
	s_and_b32 s16, s16, 0xffff
	s_add_nc_u64 s[6:7], s[12:13], s[6:7]
	s_delay_alu instid0(SALU_CYCLE_1) | instskip(SKIP_2) | instid1(SALU_CYCLE_1)
	s_ashr_i64 s[12:13], s[6:7], 1
	s_cmp_eq_u32 s4, 0
	s_cselect_b32 s4, ttmp9, s18
	v_mad_u32 v2, s4, s16, v1
	s_cselect_b32 s4, s17, s20
	s_delay_alu instid0(SALU_CYCLE_1) | instskip(SKIP_1) | instid1(VALU_DEP_1)
	v_mad_u32 v4, s4, s15, v0
	s_mov_b32 s4, s10
	v_dual_ashrrev_i32 v3, 31, v2 :: v_dual_max_i32 v8, v4, v2
	v_cmp_gt_i32_e32 vcc_lo, v4, v2
	s_delay_alu instid0(VALU_DEP_2) | instskip(SKIP_4) | instid1(VALU_DEP_2)
	v_mul_u64_e32 v[0:1], s[4:5], v[2:3]
	v_add_nc_u32_e32 v3, -1, v4
	s_load_b128 s[4:7], s[0:1], 0x18
	s_wait_xcnt 0x0
	v_cmp_gt_i32_e64 s0, s14, v8
	v_mul_lo_u32 v3, v3, v4
	s_and_b32 s0, vcc_lo, s0
	s_delay_alu instid0(VALU_DEP_1) | instskip(NEXT) | instid1(VALU_DEP_1)
	v_lshrrev_b32_e32 v5, 31, v3
	v_dual_add_nc_u32 v3, v3, v5 :: v_dual_ashrrev_i32 v5, 31, v4
	s_delay_alu instid0(VALU_DEP_1) | instskip(SKIP_1) | instid1(VALU_DEP_2)
	v_ashrrev_i32_e32 v3, 1, v3
	v_lshl_add_u64 v[6:7], v[0:1], 2, s[8:9]
	v_add_nc_u32_e32 v0, v3, v2
	s_delay_alu instid0(VALU_DEP_2) | instskip(NEXT) | instid1(VALU_DEP_2)
	v_lshl_add_u64 v[2:3], v[4:5], 2, v[6:7]
	v_ashrrev_i32_e32 v1, 31, v0
	s_branch .LBB0_3
.LBB0_2:                                ;   in Loop: Header=BB0_3 Depth=1
	s_wait_xcnt 0x0
	s_or_b32 exec_lo, exec_lo, s1
	s_add_co_i32 s2, s2, 0x10000
	s_delay_alu instid0(SALU_CYCLE_1)
	s_cmp_lt_u32 s2, s11
	s_cbranch_scc0 .LBB0_5
.LBB0_3:                                ; =>This Inner Loop Header: Depth=1
	s_mul_u64 s[8:9], s[12:13], s[2:3]
	s_delay_alu instid0(SALU_CYCLE_1)
	s_lshl_b64 s[8:9], s[8:9], 2
	s_wait_kmcnt 0x0
	s_add_nc_u64 s[6:7], s[6:7], s[8:9]
	s_and_saveexec_b32 s1, s0
	s_cbranch_execz .LBB0_2
; %bb.4:                                ;   in Loop: Header=BB0_3 Depth=1
	s_mul_u64 s[8:9], s[4:5], s[2:3]
	s_delay_alu instid0(SALU_CYCLE_1)
	v_lshl_add_u64 v[4:5], s[8:9], 2, v[2:3]
	global_load_b32 v6, v[4:5], off
	s_wait_xcnt 0x0
	v_lshl_add_u64 v[4:5], v[0:1], 2, s[6:7]
	s_wait_loadcnt 0x0
	global_store_b32 v[4:5], v6, off
	s_branch .LBB0_2
.LBB0_5:
	s_endpgm
	.section	.rodata,"a",@progbits
	.p2align	6, 0x0
	.amdhsa_kernel _ZL40rocblas_copy_triangular_syrk_herk_kernelILb1ELb1ELb0EfPfLi16ELi16EEviT3_ilPT2_i
		.amdhsa_group_segment_fixed_size 0
		.amdhsa_private_segment_fixed_size 0
		.amdhsa_kernarg_size 304
		.amdhsa_user_sgpr_count 2
		.amdhsa_user_sgpr_dispatch_ptr 0
		.amdhsa_user_sgpr_queue_ptr 0
		.amdhsa_user_sgpr_kernarg_segment_ptr 1
		.amdhsa_user_sgpr_dispatch_id 0
		.amdhsa_user_sgpr_kernarg_preload_length 0
		.amdhsa_user_sgpr_kernarg_preload_offset 0
		.amdhsa_user_sgpr_private_segment_size 0
		.amdhsa_wavefront_size32 1
		.amdhsa_uses_dynamic_stack 0
		.amdhsa_enable_private_segment 0
		.amdhsa_system_sgpr_workgroup_id_x 1
		.amdhsa_system_sgpr_workgroup_id_y 1
		.amdhsa_system_sgpr_workgroup_id_z 1
		.amdhsa_system_sgpr_workgroup_info 0
		.amdhsa_system_vgpr_workitem_id 1
		.amdhsa_next_free_vgpr 9
		.amdhsa_next_free_sgpr 21
		.amdhsa_named_barrier_count 0
		.amdhsa_reserve_vcc 1
		.amdhsa_float_round_mode_32 0
		.amdhsa_float_round_mode_16_64 0
		.amdhsa_float_denorm_mode_32 3
		.amdhsa_float_denorm_mode_16_64 3
		.amdhsa_fp16_overflow 0
		.amdhsa_memory_ordered 1
		.amdhsa_forward_progress 1
		.amdhsa_inst_pref_size 4
		.amdhsa_round_robin_scheduling 0
		.amdhsa_exception_fp_ieee_invalid_op 0
		.amdhsa_exception_fp_denorm_src 0
		.amdhsa_exception_fp_ieee_div_zero 0
		.amdhsa_exception_fp_ieee_overflow 0
		.amdhsa_exception_fp_ieee_underflow 0
		.amdhsa_exception_fp_ieee_inexact 0
		.amdhsa_exception_int_div_zero 0
	.end_amdhsa_kernel
	.section	.text._ZL40rocblas_copy_triangular_syrk_herk_kernelILb1ELb1ELb0EfPfLi16ELi16EEviT3_ilPT2_i,"axG",@progbits,_ZL40rocblas_copy_triangular_syrk_herk_kernelILb1ELb1ELb0EfPfLi16ELi16EEviT3_ilPT2_i,comdat
.Lfunc_end0:
	.size	_ZL40rocblas_copy_triangular_syrk_herk_kernelILb1ELb1ELb0EfPfLi16ELi16EEviT3_ilPT2_i, .Lfunc_end0-_ZL40rocblas_copy_triangular_syrk_herk_kernelILb1ELb1ELb0EfPfLi16ELi16EEviT3_ilPT2_i
                                        ; -- End function
	.set _ZL40rocblas_copy_triangular_syrk_herk_kernelILb1ELb1ELb0EfPfLi16ELi16EEviT3_ilPT2_i.num_vgpr, 9
	.set _ZL40rocblas_copy_triangular_syrk_herk_kernelILb1ELb1ELb0EfPfLi16ELi16EEviT3_ilPT2_i.num_agpr, 0
	.set _ZL40rocblas_copy_triangular_syrk_herk_kernelILb1ELb1ELb0EfPfLi16ELi16EEviT3_ilPT2_i.numbered_sgpr, 21
	.set _ZL40rocblas_copy_triangular_syrk_herk_kernelILb1ELb1ELb0EfPfLi16ELi16EEviT3_ilPT2_i.num_named_barrier, 0
	.set _ZL40rocblas_copy_triangular_syrk_herk_kernelILb1ELb1ELb0EfPfLi16ELi16EEviT3_ilPT2_i.private_seg_size, 0
	.set _ZL40rocblas_copy_triangular_syrk_herk_kernelILb1ELb1ELb0EfPfLi16ELi16EEviT3_ilPT2_i.uses_vcc, 1
	.set _ZL40rocblas_copy_triangular_syrk_herk_kernelILb1ELb1ELb0EfPfLi16ELi16EEviT3_ilPT2_i.uses_flat_scratch, 0
	.set _ZL40rocblas_copy_triangular_syrk_herk_kernelILb1ELb1ELb0EfPfLi16ELi16EEviT3_ilPT2_i.has_dyn_sized_stack, 0
	.set _ZL40rocblas_copy_triangular_syrk_herk_kernelILb1ELb1ELb0EfPfLi16ELi16EEviT3_ilPT2_i.has_recursion, 0
	.set _ZL40rocblas_copy_triangular_syrk_herk_kernelILb1ELb1ELb0EfPfLi16ELi16EEviT3_ilPT2_i.has_indirect_call, 0
	.section	.AMDGPU.csdata,"",@progbits
; Kernel info:
; codeLenInByte = 504
; TotalNumSgprs: 23
; NumVgprs: 9
; ScratchSize: 0
; MemoryBound: 0
; FloatMode: 240
; IeeeMode: 1
; LDSByteSize: 0 bytes/workgroup (compile time only)
; SGPRBlocks: 0
; VGPRBlocks: 0
; NumSGPRsForWavesPerEU: 23
; NumVGPRsForWavesPerEU: 9
; NamedBarCnt: 0
; Occupancy: 16
; WaveLimiterHint : 0
; COMPUTE_PGM_RSRC2:SCRATCH_EN: 0
; COMPUTE_PGM_RSRC2:USER_SGPR: 2
; COMPUTE_PGM_RSRC2:TRAP_HANDLER: 0
; COMPUTE_PGM_RSRC2:TGID_X_EN: 1
; COMPUTE_PGM_RSRC2:TGID_Y_EN: 1
; COMPUTE_PGM_RSRC2:TGID_Z_EN: 1
; COMPUTE_PGM_RSRC2:TIDIG_COMP_CNT: 1
	.section	.text._ZL40rocblas_copy_triangular_syrk_herk_kernelILb1ELb0ELb0EfPfLi16ELi16EEviT3_ilPT2_i,"axG",@progbits,_ZL40rocblas_copy_triangular_syrk_herk_kernelILb1ELb0ELb0EfPfLi16ELi16EEviT3_ilPT2_i,comdat
	.globl	_ZL40rocblas_copy_triangular_syrk_herk_kernelILb1ELb0ELb0EfPfLi16ELi16EEviT3_ilPT2_i ; -- Begin function _ZL40rocblas_copy_triangular_syrk_herk_kernelILb1ELb0ELb0EfPfLi16ELi16EEviT3_ilPT2_i
	.p2align	8
	.type	_ZL40rocblas_copy_triangular_syrk_herk_kernelILb1ELb0ELb0EfPfLi16ELi16EEviT3_ilPT2_i,@function
_ZL40rocblas_copy_triangular_syrk_herk_kernelILb1ELb0ELb0EfPfLi16ELi16EEviT3_ilPT2_i: ; @_ZL40rocblas_copy_triangular_syrk_herk_kernelILb1ELb0ELb0EfPfLi16ELi16EEviT3_ilPT2_i
; %bb.0:
	s_load_b32 s11, s[0:1], 0x28
	s_bfe_u32 s2, ttmp6, 0x40014
	s_lshr_b32 s3, ttmp7, 16
	s_add_co_i32 s2, s2, 1
	s_bfe_u32 s5, ttmp6, 0x40008
	s_mul_i32 s2, s3, s2
	s_getreg_b32 s4, hwreg(HW_REG_IB_STS2, 6, 4)
	s_add_co_i32 s5, s5, s2
	s_cmp_eq_u32 s4, 0
	s_cselect_b32 s2, s3, s5
	s_mov_b32 s3, 0
	s_wait_kmcnt 0x0
	s_cmp_ge_u32 s2, s11
	s_cbranch_scc1 .LBB1_5
; %bb.1:
	s_clause 0x2
	s_load_b32 s14, s[0:1], 0x0
	s_load_b96 s[8:10], s[0:1], 0x8
	s_load_b32 s16, s[0:1], 0x3c
	s_bfe_u32 s12, ttmp6, 0x4000c
	s_bfe_u32 s5, ttmp6, 0x40010
	s_add_co_i32 s12, s12, 1
	s_and_b32 s17, ttmp7, 0xffff
	s_mul_i32 s19, ttmp9, s12
	s_add_co_i32 s5, s5, 1
	s_bfe_u32 s6, ttmp6, 0x40004
	s_mul_i32 s5, s17, s5
	s_mov_b32 s7, s3
	s_add_co_i32 s20, s6, s5
	s_and_b32 s18, ttmp6, 15
	v_and_b32_e32 v1, 0x3ff, v0
	s_add_co_i32 s18, s18, s19
	v_bfe_u32 v0, v0, 10, 10
	s_wait_kmcnt 0x0
	s_add_co_i32 s12, s14, -1
	s_ashr_i32 s15, s14, 31
	s_ashr_i32 s13, s12, 31
	;; [unrolled: 1-line block ×3, first 2 shown]
	s_mul_u64 s[12:13], s[12:13], s[14:15]
	s_lshr_b32 s15, s16, 16
	s_lshr_b32 s6, s13, 31
	s_and_b32 s16, s16, 0xffff
	s_add_nc_u64 s[6:7], s[12:13], s[6:7]
	s_delay_alu instid0(SALU_CYCLE_1)
	s_ashr_i64 s[12:13], s[6:7], 1
	s_cmp_eq_u32 s4, 0
	s_cselect_b32 s4, ttmp9, s18
	s_cselect_b32 s6, s17, s20
	v_mad_u32 v2, s4, s16, v1
	v_mad_u32 v4, s6, s15, v0
	s_mov_b32 s4, s10
	s_delay_alu instid0(VALU_DEP_1) | instskip(SKIP_2) | instid1(VALU_DEP_3)
	v_dual_ashrrev_i32 v3, 31, v2 :: v_dual_max_i32 v9, v4, v2
	v_not_b32_e32 v8, v4
	v_cmp_lt_i32_e32 vcc_lo, v4, v2
	v_mul_u64_e32 v[0:1], s[4:5], v[2:3]
	s_load_b128 s[4:7], s[0:1], 0x18
	s_delay_alu instid0(VALU_DEP_3) | instskip(SKIP_2) | instid1(VALU_DEP_2)
	v_lshl_add_u32 v3, s14, 1, v8
	s_wait_xcnt 0x0
	v_cmp_gt_i32_e64 s0, s14, v9
	v_mul_lo_u32 v3, v3, v4
	s_and_b32 s0, vcc_lo, s0
	s_delay_alu instid0(VALU_DEP_1) | instskip(NEXT) | instid1(VALU_DEP_1)
	v_lshrrev_b32_e32 v5, 31, v3
	v_dual_add_nc_u32 v3, v3, v5 :: v_dual_ashrrev_i32 v5, 31, v4
	s_delay_alu instid0(VALU_DEP_1) | instskip(SKIP_1) | instid1(VALU_DEP_2)
	v_ashrrev_i32_e32 v3, 1, v3
	v_lshl_add_u64 v[6:7], v[0:1], 2, s[8:9]
	v_add3_u32 v0, v2, v8, v3
	s_delay_alu instid0(VALU_DEP_2) | instskip(NEXT) | instid1(VALU_DEP_2)
	v_lshl_add_u64 v[2:3], v[4:5], 2, v[6:7]
	v_ashrrev_i32_e32 v1, 31, v0
	s_branch .LBB1_3
.LBB1_2:                                ;   in Loop: Header=BB1_3 Depth=1
	s_wait_xcnt 0x0
	s_or_b32 exec_lo, exec_lo, s1
	s_add_co_i32 s2, s2, 0x10000
	s_delay_alu instid0(SALU_CYCLE_1)
	s_cmp_lt_u32 s2, s11
	s_cbranch_scc0 .LBB1_5
.LBB1_3:                                ; =>This Inner Loop Header: Depth=1
	s_mul_u64 s[8:9], s[12:13], s[2:3]
	s_delay_alu instid0(SALU_CYCLE_1)
	s_lshl_b64 s[8:9], s[8:9], 2
	s_wait_kmcnt 0x0
	s_add_nc_u64 s[6:7], s[6:7], s[8:9]
	s_and_saveexec_b32 s1, s0
	s_cbranch_execz .LBB1_2
; %bb.4:                                ;   in Loop: Header=BB1_3 Depth=1
	s_mul_u64 s[8:9], s[4:5], s[2:3]
	s_delay_alu instid0(SALU_CYCLE_1)
	v_lshl_add_u64 v[4:5], s[8:9], 2, v[2:3]
	global_load_b32 v6, v[4:5], off
	s_wait_xcnt 0x0
	v_lshl_add_u64 v[4:5], v[0:1], 2, s[6:7]
	s_wait_loadcnt 0x0
	global_store_b32 v[4:5], v6, off
	s_branch .LBB1_2
.LBB1_5:
	s_endpgm
	.section	.rodata,"a",@progbits
	.p2align	6, 0x0
	.amdhsa_kernel _ZL40rocblas_copy_triangular_syrk_herk_kernelILb1ELb0ELb0EfPfLi16ELi16EEviT3_ilPT2_i
		.amdhsa_group_segment_fixed_size 0
		.amdhsa_private_segment_fixed_size 0
		.amdhsa_kernarg_size 304
		.amdhsa_user_sgpr_count 2
		.amdhsa_user_sgpr_dispatch_ptr 0
		.amdhsa_user_sgpr_queue_ptr 0
		.amdhsa_user_sgpr_kernarg_segment_ptr 1
		.amdhsa_user_sgpr_dispatch_id 0
		.amdhsa_user_sgpr_kernarg_preload_length 0
		.amdhsa_user_sgpr_kernarg_preload_offset 0
		.amdhsa_user_sgpr_private_segment_size 0
		.amdhsa_wavefront_size32 1
		.amdhsa_uses_dynamic_stack 0
		.amdhsa_enable_private_segment 0
		.amdhsa_system_sgpr_workgroup_id_x 1
		.amdhsa_system_sgpr_workgroup_id_y 1
		.amdhsa_system_sgpr_workgroup_id_z 1
		.amdhsa_system_sgpr_workgroup_info 0
		.amdhsa_system_vgpr_workitem_id 1
		.amdhsa_next_free_vgpr 10
		.amdhsa_next_free_sgpr 21
		.amdhsa_named_barrier_count 0
		.amdhsa_reserve_vcc 1
		.amdhsa_float_round_mode_32 0
		.amdhsa_float_round_mode_16_64 0
		.amdhsa_float_denorm_mode_32 3
		.amdhsa_float_denorm_mode_16_64 3
		.amdhsa_fp16_overflow 0
		.amdhsa_memory_ordered 1
		.amdhsa_forward_progress 1
		.amdhsa_inst_pref_size 5
		.amdhsa_round_robin_scheduling 0
		.amdhsa_exception_fp_ieee_invalid_op 0
		.amdhsa_exception_fp_denorm_src 0
		.amdhsa_exception_fp_ieee_div_zero 0
		.amdhsa_exception_fp_ieee_overflow 0
		.amdhsa_exception_fp_ieee_underflow 0
		.amdhsa_exception_fp_ieee_inexact 0
		.amdhsa_exception_int_div_zero 0
	.end_amdhsa_kernel
	.section	.text._ZL40rocblas_copy_triangular_syrk_herk_kernelILb1ELb0ELb0EfPfLi16ELi16EEviT3_ilPT2_i,"axG",@progbits,_ZL40rocblas_copy_triangular_syrk_herk_kernelILb1ELb0ELb0EfPfLi16ELi16EEviT3_ilPT2_i,comdat
.Lfunc_end1:
	.size	_ZL40rocblas_copy_triangular_syrk_herk_kernelILb1ELb0ELb0EfPfLi16ELi16EEviT3_ilPT2_i, .Lfunc_end1-_ZL40rocblas_copy_triangular_syrk_herk_kernelILb1ELb0ELb0EfPfLi16ELi16EEviT3_ilPT2_i
                                        ; -- End function
	.set _ZL40rocblas_copy_triangular_syrk_herk_kernelILb1ELb0ELb0EfPfLi16ELi16EEviT3_ilPT2_i.num_vgpr, 10
	.set _ZL40rocblas_copy_triangular_syrk_herk_kernelILb1ELb0ELb0EfPfLi16ELi16EEviT3_ilPT2_i.num_agpr, 0
	.set _ZL40rocblas_copy_triangular_syrk_herk_kernelILb1ELb0ELb0EfPfLi16ELi16EEviT3_ilPT2_i.numbered_sgpr, 21
	.set _ZL40rocblas_copy_triangular_syrk_herk_kernelILb1ELb0ELb0EfPfLi16ELi16EEviT3_ilPT2_i.num_named_barrier, 0
	.set _ZL40rocblas_copy_triangular_syrk_herk_kernelILb1ELb0ELb0EfPfLi16ELi16EEviT3_ilPT2_i.private_seg_size, 0
	.set _ZL40rocblas_copy_triangular_syrk_herk_kernelILb1ELb0ELb0EfPfLi16ELi16EEviT3_ilPT2_i.uses_vcc, 1
	.set _ZL40rocblas_copy_triangular_syrk_herk_kernelILb1ELb0ELb0EfPfLi16ELi16EEviT3_ilPT2_i.uses_flat_scratch, 0
	.set _ZL40rocblas_copy_triangular_syrk_herk_kernelILb1ELb0ELb0EfPfLi16ELi16EEviT3_ilPT2_i.has_dyn_sized_stack, 0
	.set _ZL40rocblas_copy_triangular_syrk_herk_kernelILb1ELb0ELb0EfPfLi16ELi16EEviT3_ilPT2_i.has_recursion, 0
	.set _ZL40rocblas_copy_triangular_syrk_herk_kernelILb1ELb0ELb0EfPfLi16ELi16EEviT3_ilPT2_i.has_indirect_call, 0
	.section	.AMDGPU.csdata,"",@progbits
; Kernel info:
; codeLenInByte = 516
; TotalNumSgprs: 23
; NumVgprs: 10
; ScratchSize: 0
; MemoryBound: 0
; FloatMode: 240
; IeeeMode: 1
; LDSByteSize: 0 bytes/workgroup (compile time only)
; SGPRBlocks: 0
; VGPRBlocks: 0
; NumSGPRsForWavesPerEU: 23
; NumVGPRsForWavesPerEU: 10
; NamedBarCnt: 0
; Occupancy: 16
; WaveLimiterHint : 0
; COMPUTE_PGM_RSRC2:SCRATCH_EN: 0
; COMPUTE_PGM_RSRC2:USER_SGPR: 2
; COMPUTE_PGM_RSRC2:TRAP_HANDLER: 0
; COMPUTE_PGM_RSRC2:TGID_X_EN: 1
; COMPUTE_PGM_RSRC2:TGID_Y_EN: 1
; COMPUTE_PGM_RSRC2:TGID_Z_EN: 1
; COMPUTE_PGM_RSRC2:TIDIG_COMP_CNT: 1
	.section	.text._ZL40rocblas_copy_triangular_syrk_herk_kernelILb0ELb1ELb0EfPfLi16ELi16EEviT3_ilPT2_i,"axG",@progbits,_ZL40rocblas_copy_triangular_syrk_herk_kernelILb0ELb1ELb0EfPfLi16ELi16EEviT3_ilPT2_i,comdat
	.globl	_ZL40rocblas_copy_triangular_syrk_herk_kernelILb0ELb1ELb0EfPfLi16ELi16EEviT3_ilPT2_i ; -- Begin function _ZL40rocblas_copy_triangular_syrk_herk_kernelILb0ELb1ELb0EfPfLi16ELi16EEviT3_ilPT2_i
	.p2align	8
	.type	_ZL40rocblas_copy_triangular_syrk_herk_kernelILb0ELb1ELb0EfPfLi16ELi16EEviT3_ilPT2_i,@function
_ZL40rocblas_copy_triangular_syrk_herk_kernelILb0ELb1ELb0EfPfLi16ELi16EEviT3_ilPT2_i: ; @_ZL40rocblas_copy_triangular_syrk_herk_kernelILb0ELb1ELb0EfPfLi16ELi16EEviT3_ilPT2_i
; %bb.0:
	s_load_b32 s11, s[0:1], 0x28
	s_bfe_u32 s2, ttmp6, 0x40014
	s_lshr_b32 s3, ttmp7, 16
	s_add_co_i32 s2, s2, 1
	s_bfe_u32 s5, ttmp6, 0x40008
	s_mul_i32 s2, s3, s2
	s_getreg_b32 s4, hwreg(HW_REG_IB_STS2, 6, 4)
	s_add_co_i32 s5, s5, s2
	s_cmp_eq_u32 s4, 0
	s_cselect_b32 s2, s3, s5
	s_mov_b32 s3, 0
	s_wait_kmcnt 0x0
	s_cmp_ge_u32 s2, s11
	s_cbranch_scc1 .LBB2_5
; %bb.1:
	s_clause 0x2
	s_load_b32 s14, s[0:1], 0x0
	s_load_b96 s[8:10], s[0:1], 0x8
	s_load_b32 s16, s[0:1], 0x3c
	s_bfe_u32 s12, ttmp6, 0x4000c
	s_bfe_u32 s5, ttmp6, 0x40010
	s_add_co_i32 s12, s12, 1
	s_and_b32 s17, ttmp7, 0xffff
	s_mul_i32 s19, ttmp9, s12
	s_add_co_i32 s5, s5, 1
	s_bfe_u32 s6, ttmp6, 0x40004
	s_mul_i32 s5, s17, s5
	s_mov_b32 s7, s3
	s_add_co_i32 s20, s6, s5
	s_and_b32 s18, ttmp6, 15
	v_and_b32_e32 v1, 0x3ff, v0
	s_add_co_i32 s18, s18, s19
	v_bfe_u32 v0, v0, 10, 10
	s_wait_kmcnt 0x0
	s_add_co_i32 s12, s14, -1
	s_ashr_i32 s15, s14, 31
	s_ashr_i32 s13, s12, 31
	;; [unrolled: 1-line block ×3, first 2 shown]
	s_mul_u64 s[12:13], s[12:13], s[14:15]
	s_lshr_b32 s15, s16, 16
	s_lshr_b32 s6, s13, 31
	s_and_b32 s16, s16, 0xffff
	s_add_nc_u64 s[6:7], s[12:13], s[6:7]
	s_delay_alu instid0(SALU_CYCLE_1) | instskip(SKIP_2) | instid1(SALU_CYCLE_1)
	s_ashr_i64 s[12:13], s[6:7], 1
	s_cmp_eq_u32 s4, 0
	s_cselect_b32 s4, ttmp9, s18
	v_mad_u32 v2, s4, s16, v1
	s_cselect_b32 s4, s17, s20
	s_delay_alu instid0(SALU_CYCLE_1) | instskip(SKIP_1) | instid1(VALU_DEP_1)
	v_mad_u32 v4, s4, s15, v0
	s_mov_b32 s4, s10
	v_dual_ashrrev_i32 v3, 31, v2 :: v_dual_add_nc_u32 v0, -1, v4
	v_ashrrev_i32_e32 v5, 31, v4
	s_delay_alu instid0(VALU_DEP_2) | instskip(SKIP_4) | instid1(VALU_DEP_1)
	v_mul_u64_e32 v[6:7], s[4:5], v[2:3]
	s_load_b128 s[4:7], s[0:1], 0x18
	s_wait_xcnt 0x0
	v_cmp_gt_i32_e64 s0, v4, v2
	v_mul_lo_u32 v0, v0, v4
	v_lshrrev_b32_e32 v1, 31, v0
	s_delay_alu instid0(VALU_DEP_1) | instskip(NEXT) | instid1(VALU_DEP_1)
	v_add_nc_u32_e32 v0, v0, v1
	v_dual_ashrrev_i32 v0, 1, v0 :: v_dual_max_i32 v1, v4, v2
	s_delay_alu instid0(VALU_DEP_1) | instskip(NEXT) | instid1(VALU_DEP_2)
	v_cmp_gt_i32_e32 vcc_lo, s14, v1
	v_add_nc_u32_e32 v0, v0, v2
	s_and_b32 s0, s0, vcc_lo
	v_lshl_add_u64 v[6:7], v[6:7], 2, s[8:9]
	s_delay_alu instid0(VALU_DEP_2) | instskip(NEXT) | instid1(VALU_DEP_2)
	v_ashrrev_i32_e32 v1, 31, v0
	v_lshl_add_u64 v[2:3], v[4:5], 2, v[6:7]
	s_branch .LBB2_3
.LBB2_2:                                ;   in Loop: Header=BB2_3 Depth=1
	s_wait_xcnt 0x0
	s_or_b32 exec_lo, exec_lo, s1
	s_add_co_i32 s2, s2, 0x10000
	s_delay_alu instid0(SALU_CYCLE_1)
	s_cmp_lt_u32 s2, s11
	s_cbranch_scc0 .LBB2_5
.LBB2_3:                                ; =>This Inner Loop Header: Depth=1
	s_mul_u64 s[8:9], s[12:13], s[2:3]
	s_delay_alu instid0(SALU_CYCLE_1)
	s_lshl_b64 s[8:9], s[8:9], 2
	s_wait_kmcnt 0x0
	s_add_nc_u64 s[6:7], s[6:7], s[8:9]
	s_and_saveexec_b32 s1, s0
	s_cbranch_execz .LBB2_2
; %bb.4:                                ;   in Loop: Header=BB2_3 Depth=1
	v_lshl_add_u64 v[4:5], v[0:1], 2, s[6:7]
	s_mul_u64 s[8:9], s[4:5], s[2:3]
	global_load_b32 v6, v[4:5], off
	s_wait_xcnt 0x0
	v_lshl_add_u64 v[4:5], s[8:9], 2, v[2:3]
	s_wait_loadcnt 0x0
	global_store_b32 v[4:5], v6, off
	s_branch .LBB2_2
.LBB2_5:
	s_endpgm
	.section	.rodata,"a",@progbits
	.p2align	6, 0x0
	.amdhsa_kernel _ZL40rocblas_copy_triangular_syrk_herk_kernelILb0ELb1ELb0EfPfLi16ELi16EEviT3_ilPT2_i
		.amdhsa_group_segment_fixed_size 0
		.amdhsa_private_segment_fixed_size 0
		.amdhsa_kernarg_size 304
		.amdhsa_user_sgpr_count 2
		.amdhsa_user_sgpr_dispatch_ptr 0
		.amdhsa_user_sgpr_queue_ptr 0
		.amdhsa_user_sgpr_kernarg_segment_ptr 1
		.amdhsa_user_sgpr_dispatch_id 0
		.amdhsa_user_sgpr_kernarg_preload_length 0
		.amdhsa_user_sgpr_kernarg_preload_offset 0
		.amdhsa_user_sgpr_private_segment_size 0
		.amdhsa_wavefront_size32 1
		.amdhsa_uses_dynamic_stack 0
		.amdhsa_enable_private_segment 0
		.amdhsa_system_sgpr_workgroup_id_x 1
		.amdhsa_system_sgpr_workgroup_id_y 1
		.amdhsa_system_sgpr_workgroup_id_z 1
		.amdhsa_system_sgpr_workgroup_info 0
		.amdhsa_system_vgpr_workitem_id 1
		.amdhsa_next_free_vgpr 8
		.amdhsa_next_free_sgpr 21
		.amdhsa_named_barrier_count 0
		.amdhsa_reserve_vcc 1
		.amdhsa_float_round_mode_32 0
		.amdhsa_float_round_mode_16_64 0
		.amdhsa_float_denorm_mode_32 3
		.amdhsa_float_denorm_mode_16_64 3
		.amdhsa_fp16_overflow 0
		.amdhsa_memory_ordered 1
		.amdhsa_forward_progress 1
		.amdhsa_inst_pref_size 4
		.amdhsa_round_robin_scheduling 0
		.amdhsa_exception_fp_ieee_invalid_op 0
		.amdhsa_exception_fp_denorm_src 0
		.amdhsa_exception_fp_ieee_div_zero 0
		.amdhsa_exception_fp_ieee_overflow 0
		.amdhsa_exception_fp_ieee_underflow 0
		.amdhsa_exception_fp_ieee_inexact 0
		.amdhsa_exception_int_div_zero 0
	.end_amdhsa_kernel
	.section	.text._ZL40rocblas_copy_triangular_syrk_herk_kernelILb0ELb1ELb0EfPfLi16ELi16EEviT3_ilPT2_i,"axG",@progbits,_ZL40rocblas_copy_triangular_syrk_herk_kernelILb0ELb1ELb0EfPfLi16ELi16EEviT3_ilPT2_i,comdat
.Lfunc_end2:
	.size	_ZL40rocblas_copy_triangular_syrk_herk_kernelILb0ELb1ELb0EfPfLi16ELi16EEviT3_ilPT2_i, .Lfunc_end2-_ZL40rocblas_copy_triangular_syrk_herk_kernelILb0ELb1ELb0EfPfLi16ELi16EEviT3_ilPT2_i
                                        ; -- End function
	.set _ZL40rocblas_copy_triangular_syrk_herk_kernelILb0ELb1ELb0EfPfLi16ELi16EEviT3_ilPT2_i.num_vgpr, 8
	.set _ZL40rocblas_copy_triangular_syrk_herk_kernelILb0ELb1ELb0EfPfLi16ELi16EEviT3_ilPT2_i.num_agpr, 0
	.set _ZL40rocblas_copy_triangular_syrk_herk_kernelILb0ELb1ELb0EfPfLi16ELi16EEviT3_ilPT2_i.numbered_sgpr, 21
	.set _ZL40rocblas_copy_triangular_syrk_herk_kernelILb0ELb1ELb0EfPfLi16ELi16EEviT3_ilPT2_i.num_named_barrier, 0
	.set _ZL40rocblas_copy_triangular_syrk_herk_kernelILb0ELb1ELb0EfPfLi16ELi16EEviT3_ilPT2_i.private_seg_size, 0
	.set _ZL40rocblas_copy_triangular_syrk_herk_kernelILb0ELb1ELb0EfPfLi16ELi16EEviT3_ilPT2_i.uses_vcc, 1
	.set _ZL40rocblas_copy_triangular_syrk_herk_kernelILb0ELb1ELb0EfPfLi16ELi16EEviT3_ilPT2_i.uses_flat_scratch, 0
	.set _ZL40rocblas_copy_triangular_syrk_herk_kernelILb0ELb1ELb0EfPfLi16ELi16EEviT3_ilPT2_i.has_dyn_sized_stack, 0
	.set _ZL40rocblas_copy_triangular_syrk_herk_kernelILb0ELb1ELb0EfPfLi16ELi16EEviT3_ilPT2_i.has_recursion, 0
	.set _ZL40rocblas_copy_triangular_syrk_herk_kernelILb0ELb1ELb0EfPfLi16ELi16EEviT3_ilPT2_i.has_indirect_call, 0
	.section	.AMDGPU.csdata,"",@progbits
; Kernel info:
; codeLenInByte = 500
; TotalNumSgprs: 23
; NumVgprs: 8
; ScratchSize: 0
; MemoryBound: 0
; FloatMode: 240
; IeeeMode: 1
; LDSByteSize: 0 bytes/workgroup (compile time only)
; SGPRBlocks: 0
; VGPRBlocks: 0
; NumSGPRsForWavesPerEU: 23
; NumVGPRsForWavesPerEU: 8
; NamedBarCnt: 0
; Occupancy: 16
; WaveLimiterHint : 0
; COMPUTE_PGM_RSRC2:SCRATCH_EN: 0
; COMPUTE_PGM_RSRC2:USER_SGPR: 2
; COMPUTE_PGM_RSRC2:TRAP_HANDLER: 0
; COMPUTE_PGM_RSRC2:TGID_X_EN: 1
; COMPUTE_PGM_RSRC2:TGID_Y_EN: 1
; COMPUTE_PGM_RSRC2:TGID_Z_EN: 1
; COMPUTE_PGM_RSRC2:TIDIG_COMP_CNT: 1
	.section	.text._ZL40rocblas_copy_triangular_syrk_herk_kernelILb0ELb0ELb0EfPfLi16ELi16EEviT3_ilPT2_i,"axG",@progbits,_ZL40rocblas_copy_triangular_syrk_herk_kernelILb0ELb0ELb0EfPfLi16ELi16EEviT3_ilPT2_i,comdat
	.globl	_ZL40rocblas_copy_triangular_syrk_herk_kernelILb0ELb0ELb0EfPfLi16ELi16EEviT3_ilPT2_i ; -- Begin function _ZL40rocblas_copy_triangular_syrk_herk_kernelILb0ELb0ELb0EfPfLi16ELi16EEviT3_ilPT2_i
	.p2align	8
	.type	_ZL40rocblas_copy_triangular_syrk_herk_kernelILb0ELb0ELb0EfPfLi16ELi16EEviT3_ilPT2_i,@function
_ZL40rocblas_copy_triangular_syrk_herk_kernelILb0ELb0ELb0EfPfLi16ELi16EEviT3_ilPT2_i: ; @_ZL40rocblas_copy_triangular_syrk_herk_kernelILb0ELb0ELb0EfPfLi16ELi16EEviT3_ilPT2_i
; %bb.0:
	s_load_b32 s11, s[0:1], 0x28
	s_bfe_u32 s2, ttmp6, 0x40014
	s_lshr_b32 s3, ttmp7, 16
	s_add_co_i32 s2, s2, 1
	s_bfe_u32 s5, ttmp6, 0x40008
	s_mul_i32 s2, s3, s2
	s_getreg_b32 s4, hwreg(HW_REG_IB_STS2, 6, 4)
	s_add_co_i32 s5, s5, s2
	s_cmp_eq_u32 s4, 0
	s_cselect_b32 s2, s3, s5
	s_mov_b32 s3, 0
	s_wait_kmcnt 0x0
	s_cmp_ge_u32 s2, s11
	s_cbranch_scc1 .LBB3_5
; %bb.1:
	s_clause 0x2
	s_load_b32 s14, s[0:1], 0x0
	s_load_b96 s[8:10], s[0:1], 0x8
	s_load_b32 s16, s[0:1], 0x3c
	s_bfe_u32 s12, ttmp6, 0x4000c
	s_bfe_u32 s5, ttmp6, 0x40010
	s_add_co_i32 s12, s12, 1
	s_and_b32 s17, ttmp7, 0xffff
	s_mul_i32 s19, ttmp9, s12
	s_add_co_i32 s5, s5, 1
	s_bfe_u32 s6, ttmp6, 0x40004
	s_mul_i32 s5, s17, s5
	s_mov_b32 s7, s3
	s_add_co_i32 s20, s6, s5
	s_and_b32 s18, ttmp6, 15
	v_and_b32_e32 v1, 0x3ff, v0
	v_bfe_u32 v0, v0, 10, 10
	s_add_co_i32 s18, s18, s19
	s_wait_kmcnt 0x0
	s_add_co_i32 s12, s14, -1
	s_ashr_i32 s15, s14, 31
	s_ashr_i32 s13, s12, 31
	;; [unrolled: 1-line block ×3, first 2 shown]
	s_mul_u64 s[12:13], s[12:13], s[14:15]
	s_lshr_b32 s15, s16, 16
	s_lshr_b32 s6, s13, 31
	s_and_b32 s16, s16, 0xffff
	s_add_nc_u64 s[6:7], s[12:13], s[6:7]
	s_delay_alu instid0(SALU_CYCLE_1)
	s_ashr_i64 s[12:13], s[6:7], 1
	s_cmp_eq_u32 s4, 0
	s_cselect_b32 s4, s17, s20
	s_cselect_b32 s6, ttmp9, s18
	v_mad_u32 v2, s4, s15, v0
	v_mad_u32 v4, s6, s16, v1
	s_mov_b32 s4, s10
	s_delay_alu instid0(VALU_DEP_2) | instskip(NEXT) | instid1(VALU_DEP_1)
	v_not_b32_e32 v0, v2
	v_lshl_add_u32 v1, s14, 1, v0
	s_delay_alu instid0(VALU_DEP_1) | instskip(NEXT) | instid1(VALU_DEP_1)
	v_mul_lo_u32 v1, v1, v2
	v_dual_ashrrev_i32 v5, 31, v4 :: v_dual_lshrrev_b32 v3, 31, v1
	s_delay_alu instid0(VALU_DEP_1)
	v_mul_u64_e32 v[6:7], s[4:5], v[4:5]
	s_load_b128 s[4:7], s[0:1], 0x18
	s_wait_xcnt 0x0
	v_cmp_lt_i32_e64 s0, v2, v4
	v_dual_add_nc_u32 v1, v1, v3 :: v_dual_max_i32 v5, v2, v4
	v_ashrrev_i32_e32 v3, 31, v2
	s_delay_alu instid0(VALU_DEP_2) | instskip(NEXT) | instid1(VALU_DEP_3)
	v_cmp_gt_i32_e32 vcc_lo, s14, v5
	v_ashrrev_i32_e32 v1, 1, v1
	s_and_b32 s0, s0, vcc_lo
	s_delay_alu instid0(VALU_DEP_1) | instskip(NEXT) | instid1(VALU_DEP_1)
	v_add3_u32 v0, v4, v0, v1
	v_ashrrev_i32_e32 v1, 31, v0
	v_lshl_add_u64 v[6:7], v[6:7], 2, s[8:9]
	s_delay_alu instid0(VALU_DEP_1)
	v_lshl_add_u64 v[2:3], v[2:3], 2, v[6:7]
	s_branch .LBB3_3
.LBB3_2:                                ;   in Loop: Header=BB3_3 Depth=1
	s_wait_xcnt 0x0
	s_or_b32 exec_lo, exec_lo, s1
	s_add_co_i32 s2, s2, 0x10000
	s_delay_alu instid0(SALU_CYCLE_1)
	s_cmp_lt_u32 s2, s11
	s_cbranch_scc0 .LBB3_5
.LBB3_3:                                ; =>This Inner Loop Header: Depth=1
	s_mul_u64 s[8:9], s[12:13], s[2:3]
	s_delay_alu instid0(SALU_CYCLE_1)
	s_lshl_b64 s[8:9], s[8:9], 2
	s_wait_kmcnt 0x0
	s_add_nc_u64 s[6:7], s[6:7], s[8:9]
	s_and_saveexec_b32 s1, s0
	s_cbranch_execz .LBB3_2
; %bb.4:                                ;   in Loop: Header=BB3_3 Depth=1
	v_lshl_add_u64 v[4:5], v[0:1], 2, s[6:7]
	s_mul_u64 s[8:9], s[4:5], s[2:3]
	global_load_b32 v6, v[4:5], off
	s_wait_xcnt 0x0
	v_lshl_add_u64 v[4:5], s[8:9], 2, v[2:3]
	s_wait_loadcnt 0x0
	global_store_b32 v[4:5], v6, off
	s_branch .LBB3_2
.LBB3_5:
	s_endpgm
	.section	.rodata,"a",@progbits
	.p2align	6, 0x0
	.amdhsa_kernel _ZL40rocblas_copy_triangular_syrk_herk_kernelILb0ELb0ELb0EfPfLi16ELi16EEviT3_ilPT2_i
		.amdhsa_group_segment_fixed_size 0
		.amdhsa_private_segment_fixed_size 0
		.amdhsa_kernarg_size 304
		.amdhsa_user_sgpr_count 2
		.amdhsa_user_sgpr_dispatch_ptr 0
		.amdhsa_user_sgpr_queue_ptr 0
		.amdhsa_user_sgpr_kernarg_segment_ptr 1
		.amdhsa_user_sgpr_dispatch_id 0
		.amdhsa_user_sgpr_kernarg_preload_length 0
		.amdhsa_user_sgpr_kernarg_preload_offset 0
		.amdhsa_user_sgpr_private_segment_size 0
		.amdhsa_wavefront_size32 1
		.amdhsa_uses_dynamic_stack 0
		.amdhsa_enable_private_segment 0
		.amdhsa_system_sgpr_workgroup_id_x 1
		.amdhsa_system_sgpr_workgroup_id_y 1
		.amdhsa_system_sgpr_workgroup_id_z 1
		.amdhsa_system_sgpr_workgroup_info 0
		.amdhsa_system_vgpr_workitem_id 1
		.amdhsa_next_free_vgpr 8
		.amdhsa_next_free_sgpr 21
		.amdhsa_named_barrier_count 0
		.amdhsa_reserve_vcc 1
		.amdhsa_float_round_mode_32 0
		.amdhsa_float_round_mode_16_64 0
		.amdhsa_float_denorm_mode_32 3
		.amdhsa_float_denorm_mode_16_64 3
		.amdhsa_fp16_overflow 0
		.amdhsa_memory_ordered 1
		.amdhsa_forward_progress 1
		.amdhsa_inst_pref_size 5
		.amdhsa_round_robin_scheduling 0
		.amdhsa_exception_fp_ieee_invalid_op 0
		.amdhsa_exception_fp_denorm_src 0
		.amdhsa_exception_fp_ieee_div_zero 0
		.amdhsa_exception_fp_ieee_overflow 0
		.amdhsa_exception_fp_ieee_underflow 0
		.amdhsa_exception_fp_ieee_inexact 0
		.amdhsa_exception_int_div_zero 0
	.end_amdhsa_kernel
	.section	.text._ZL40rocblas_copy_triangular_syrk_herk_kernelILb0ELb0ELb0EfPfLi16ELi16EEviT3_ilPT2_i,"axG",@progbits,_ZL40rocblas_copy_triangular_syrk_herk_kernelILb0ELb0ELb0EfPfLi16ELi16EEviT3_ilPT2_i,comdat
.Lfunc_end3:
	.size	_ZL40rocblas_copy_triangular_syrk_herk_kernelILb0ELb0ELb0EfPfLi16ELi16EEviT3_ilPT2_i, .Lfunc_end3-_ZL40rocblas_copy_triangular_syrk_herk_kernelILb0ELb0ELb0EfPfLi16ELi16EEviT3_ilPT2_i
                                        ; -- End function
	.set _ZL40rocblas_copy_triangular_syrk_herk_kernelILb0ELb0ELb0EfPfLi16ELi16EEviT3_ilPT2_i.num_vgpr, 8
	.set _ZL40rocblas_copy_triangular_syrk_herk_kernelILb0ELb0ELb0EfPfLi16ELi16EEviT3_ilPT2_i.num_agpr, 0
	.set _ZL40rocblas_copy_triangular_syrk_herk_kernelILb0ELb0ELb0EfPfLi16ELi16EEviT3_ilPT2_i.numbered_sgpr, 21
	.set _ZL40rocblas_copy_triangular_syrk_herk_kernelILb0ELb0ELb0EfPfLi16ELi16EEviT3_ilPT2_i.num_named_barrier, 0
	.set _ZL40rocblas_copy_triangular_syrk_herk_kernelILb0ELb0ELb0EfPfLi16ELi16EEviT3_ilPT2_i.private_seg_size, 0
	.set _ZL40rocblas_copy_triangular_syrk_herk_kernelILb0ELb0ELb0EfPfLi16ELi16EEviT3_ilPT2_i.uses_vcc, 1
	.set _ZL40rocblas_copy_triangular_syrk_herk_kernelILb0ELb0ELb0EfPfLi16ELi16EEviT3_ilPT2_i.uses_flat_scratch, 0
	.set _ZL40rocblas_copy_triangular_syrk_herk_kernelILb0ELb0ELb0EfPfLi16ELi16EEviT3_ilPT2_i.has_dyn_sized_stack, 0
	.set _ZL40rocblas_copy_triangular_syrk_herk_kernelILb0ELb0ELb0EfPfLi16ELi16EEviT3_ilPT2_i.has_recursion, 0
	.set _ZL40rocblas_copy_triangular_syrk_herk_kernelILb0ELb0ELb0EfPfLi16ELi16EEviT3_ilPT2_i.has_indirect_call, 0
	.section	.AMDGPU.csdata,"",@progbits
; Kernel info:
; codeLenInByte = 516
; TotalNumSgprs: 23
; NumVgprs: 8
; ScratchSize: 0
; MemoryBound: 0
; FloatMode: 240
; IeeeMode: 1
; LDSByteSize: 0 bytes/workgroup (compile time only)
; SGPRBlocks: 0
; VGPRBlocks: 0
; NumSGPRsForWavesPerEU: 23
; NumVGPRsForWavesPerEU: 8
; NamedBarCnt: 0
; Occupancy: 16
; WaveLimiterHint : 0
; COMPUTE_PGM_RSRC2:SCRATCH_EN: 0
; COMPUTE_PGM_RSRC2:USER_SGPR: 2
; COMPUTE_PGM_RSRC2:TRAP_HANDLER: 0
; COMPUTE_PGM_RSRC2:TGID_X_EN: 1
; COMPUTE_PGM_RSRC2:TGID_Y_EN: 1
; COMPUTE_PGM_RSRC2:TGID_Z_EN: 1
; COMPUTE_PGM_RSRC2:TIDIG_COMP_CNT: 1
	.section	.text._ZL40rocblas_copy_triangular_syrk_herk_kernelILb1ELb1ELb0EdPdLi16ELi16EEviT3_ilPT2_i,"axG",@progbits,_ZL40rocblas_copy_triangular_syrk_herk_kernelILb1ELb1ELb0EdPdLi16ELi16EEviT3_ilPT2_i,comdat
	.globl	_ZL40rocblas_copy_triangular_syrk_herk_kernelILb1ELb1ELb0EdPdLi16ELi16EEviT3_ilPT2_i ; -- Begin function _ZL40rocblas_copy_triangular_syrk_herk_kernelILb1ELb1ELb0EdPdLi16ELi16EEviT3_ilPT2_i
	.p2align	8
	.type	_ZL40rocblas_copy_triangular_syrk_herk_kernelILb1ELb1ELb0EdPdLi16ELi16EEviT3_ilPT2_i,@function
_ZL40rocblas_copy_triangular_syrk_herk_kernelILb1ELb1ELb0EdPdLi16ELi16EEviT3_ilPT2_i: ; @_ZL40rocblas_copy_triangular_syrk_herk_kernelILb1ELb1ELb0EdPdLi16ELi16EEviT3_ilPT2_i
; %bb.0:
	s_load_b32 s11, s[0:1], 0x28
	s_bfe_u32 s2, ttmp6, 0x40014
	s_lshr_b32 s3, ttmp7, 16
	s_add_co_i32 s2, s2, 1
	s_bfe_u32 s5, ttmp6, 0x40008
	s_mul_i32 s2, s3, s2
	s_getreg_b32 s4, hwreg(HW_REG_IB_STS2, 6, 4)
	s_add_co_i32 s5, s5, s2
	s_cmp_eq_u32 s4, 0
	s_cselect_b32 s2, s3, s5
	s_mov_b32 s3, 0
	s_wait_kmcnt 0x0
	s_cmp_ge_u32 s2, s11
	s_cbranch_scc1 .LBB4_5
; %bb.1:
	s_clause 0x2
	s_load_b32 s14, s[0:1], 0x0
	s_load_b96 s[8:10], s[0:1], 0x8
	s_load_b32 s16, s[0:1], 0x3c
	s_bfe_u32 s12, ttmp6, 0x4000c
	s_bfe_u32 s5, ttmp6, 0x40010
	s_add_co_i32 s12, s12, 1
	s_and_b32 s17, ttmp7, 0xffff
	s_mul_i32 s19, ttmp9, s12
	s_add_co_i32 s5, s5, 1
	s_bfe_u32 s6, ttmp6, 0x40004
	s_mul_i32 s5, s17, s5
	s_mov_b32 s7, s3
	s_add_co_i32 s20, s6, s5
	s_and_b32 s18, ttmp6, 15
	v_and_b32_e32 v1, 0x3ff, v0
	s_add_co_i32 s18, s18, s19
	v_bfe_u32 v0, v0, 10, 10
	s_wait_kmcnt 0x0
	s_add_co_i32 s12, s14, -1
	s_ashr_i32 s15, s14, 31
	s_ashr_i32 s13, s12, 31
	;; [unrolled: 1-line block ×3, first 2 shown]
	s_mul_u64 s[12:13], s[12:13], s[14:15]
	s_lshr_b32 s15, s16, 16
	s_lshr_b32 s6, s13, 31
	s_and_b32 s16, s16, 0xffff
	s_add_nc_u64 s[6:7], s[12:13], s[6:7]
	s_delay_alu instid0(SALU_CYCLE_1) | instskip(SKIP_2) | instid1(SALU_CYCLE_1)
	s_ashr_i64 s[12:13], s[6:7], 1
	s_cmp_eq_u32 s4, 0
	s_cselect_b32 s4, ttmp9, s18
	v_mad_u32 v2, s4, s16, v1
	s_cselect_b32 s4, s17, s20
	s_delay_alu instid0(SALU_CYCLE_1) | instskip(SKIP_1) | instid1(VALU_DEP_1)
	v_mad_u32 v4, s4, s15, v0
	s_mov_b32 s4, s10
	v_dual_ashrrev_i32 v3, 31, v2 :: v_dual_max_i32 v8, v4, v2
	v_cmp_gt_i32_e32 vcc_lo, v4, v2
	s_delay_alu instid0(VALU_DEP_2) | instskip(SKIP_4) | instid1(VALU_DEP_2)
	v_mul_u64_e32 v[0:1], s[4:5], v[2:3]
	v_add_nc_u32_e32 v3, -1, v4
	s_load_b128 s[4:7], s[0:1], 0x18
	s_wait_xcnt 0x0
	v_cmp_gt_i32_e64 s0, s14, v8
	v_mul_lo_u32 v3, v3, v4
	s_and_b32 s0, vcc_lo, s0
	s_delay_alu instid0(VALU_DEP_1) | instskip(NEXT) | instid1(VALU_DEP_1)
	v_lshrrev_b32_e32 v5, 31, v3
	v_dual_add_nc_u32 v3, v3, v5 :: v_dual_ashrrev_i32 v5, 31, v4
	s_delay_alu instid0(VALU_DEP_1) | instskip(SKIP_1) | instid1(VALU_DEP_2)
	v_ashrrev_i32_e32 v3, 1, v3
	v_lshl_add_u64 v[6:7], v[0:1], 3, s[8:9]
	v_add_nc_u32_e32 v0, v3, v2
	s_delay_alu instid0(VALU_DEP_2) | instskip(NEXT) | instid1(VALU_DEP_2)
	v_lshl_add_u64 v[2:3], v[4:5], 3, v[6:7]
	v_ashrrev_i32_e32 v1, 31, v0
	s_branch .LBB4_3
.LBB4_2:                                ;   in Loop: Header=BB4_3 Depth=1
	s_wait_xcnt 0x0
	s_or_b32 exec_lo, exec_lo, s1
	s_add_co_i32 s2, s2, 0x10000
	s_delay_alu instid0(SALU_CYCLE_1)
	s_cmp_lt_u32 s2, s11
	s_cbranch_scc0 .LBB4_5
.LBB4_3:                                ; =>This Inner Loop Header: Depth=1
	s_mul_u64 s[8:9], s[12:13], s[2:3]
	s_delay_alu instid0(SALU_CYCLE_1)
	s_lshl_b64 s[8:9], s[8:9], 3
	s_wait_kmcnt 0x0
	s_add_nc_u64 s[6:7], s[6:7], s[8:9]
	s_and_saveexec_b32 s1, s0
	s_cbranch_execz .LBB4_2
; %bb.4:                                ;   in Loop: Header=BB4_3 Depth=1
	s_mul_u64 s[8:9], s[4:5], s[2:3]
	v_lshl_add_u64 v[6:7], v[0:1], 3, s[6:7]
	v_lshl_add_u64 v[4:5], s[8:9], 3, v[2:3]
	global_load_b64 v[4:5], v[4:5], off
	s_wait_loadcnt 0x0
	global_store_b64 v[6:7], v[4:5], off
	s_branch .LBB4_2
.LBB4_5:
	s_endpgm
	.section	.rodata,"a",@progbits
	.p2align	6, 0x0
	.amdhsa_kernel _ZL40rocblas_copy_triangular_syrk_herk_kernelILb1ELb1ELb0EdPdLi16ELi16EEviT3_ilPT2_i
		.amdhsa_group_segment_fixed_size 0
		.amdhsa_private_segment_fixed_size 0
		.amdhsa_kernarg_size 304
		.amdhsa_user_sgpr_count 2
		.amdhsa_user_sgpr_dispatch_ptr 0
		.amdhsa_user_sgpr_queue_ptr 0
		.amdhsa_user_sgpr_kernarg_segment_ptr 1
		.amdhsa_user_sgpr_dispatch_id 0
		.amdhsa_user_sgpr_kernarg_preload_length 0
		.amdhsa_user_sgpr_kernarg_preload_offset 0
		.amdhsa_user_sgpr_private_segment_size 0
		.amdhsa_wavefront_size32 1
		.amdhsa_uses_dynamic_stack 0
		.amdhsa_enable_private_segment 0
		.amdhsa_system_sgpr_workgroup_id_x 1
		.amdhsa_system_sgpr_workgroup_id_y 1
		.amdhsa_system_sgpr_workgroup_id_z 1
		.amdhsa_system_sgpr_workgroup_info 0
		.amdhsa_system_vgpr_workitem_id 1
		.amdhsa_next_free_vgpr 9
		.amdhsa_next_free_sgpr 21
		.amdhsa_named_barrier_count 0
		.amdhsa_reserve_vcc 1
		.amdhsa_float_round_mode_32 0
		.amdhsa_float_round_mode_16_64 0
		.amdhsa_float_denorm_mode_32 3
		.amdhsa_float_denorm_mode_16_64 3
		.amdhsa_fp16_overflow 0
		.amdhsa_memory_ordered 1
		.amdhsa_forward_progress 1
		.amdhsa_inst_pref_size 4
		.amdhsa_round_robin_scheduling 0
		.amdhsa_exception_fp_ieee_invalid_op 0
		.amdhsa_exception_fp_denorm_src 0
		.amdhsa_exception_fp_ieee_div_zero 0
		.amdhsa_exception_fp_ieee_overflow 0
		.amdhsa_exception_fp_ieee_underflow 0
		.amdhsa_exception_fp_ieee_inexact 0
		.amdhsa_exception_int_div_zero 0
	.end_amdhsa_kernel
	.section	.text._ZL40rocblas_copy_triangular_syrk_herk_kernelILb1ELb1ELb0EdPdLi16ELi16EEviT3_ilPT2_i,"axG",@progbits,_ZL40rocblas_copy_triangular_syrk_herk_kernelILb1ELb1ELb0EdPdLi16ELi16EEviT3_ilPT2_i,comdat
.Lfunc_end4:
	.size	_ZL40rocblas_copy_triangular_syrk_herk_kernelILb1ELb1ELb0EdPdLi16ELi16EEviT3_ilPT2_i, .Lfunc_end4-_ZL40rocblas_copy_triangular_syrk_herk_kernelILb1ELb1ELb0EdPdLi16ELi16EEviT3_ilPT2_i
                                        ; -- End function
	.set _ZL40rocblas_copy_triangular_syrk_herk_kernelILb1ELb1ELb0EdPdLi16ELi16EEviT3_ilPT2_i.num_vgpr, 9
	.set _ZL40rocblas_copy_triangular_syrk_herk_kernelILb1ELb1ELb0EdPdLi16ELi16EEviT3_ilPT2_i.num_agpr, 0
	.set _ZL40rocblas_copy_triangular_syrk_herk_kernelILb1ELb1ELb0EdPdLi16ELi16EEviT3_ilPT2_i.numbered_sgpr, 21
	.set _ZL40rocblas_copy_triangular_syrk_herk_kernelILb1ELb1ELb0EdPdLi16ELi16EEviT3_ilPT2_i.num_named_barrier, 0
	.set _ZL40rocblas_copy_triangular_syrk_herk_kernelILb1ELb1ELb0EdPdLi16ELi16EEviT3_ilPT2_i.private_seg_size, 0
	.set _ZL40rocblas_copy_triangular_syrk_herk_kernelILb1ELb1ELb0EdPdLi16ELi16EEviT3_ilPT2_i.uses_vcc, 1
	.set _ZL40rocblas_copy_triangular_syrk_herk_kernelILb1ELb1ELb0EdPdLi16ELi16EEviT3_ilPT2_i.uses_flat_scratch, 0
	.set _ZL40rocblas_copy_triangular_syrk_herk_kernelILb1ELb1ELb0EdPdLi16ELi16EEviT3_ilPT2_i.has_dyn_sized_stack, 0
	.set _ZL40rocblas_copy_triangular_syrk_herk_kernelILb1ELb1ELb0EdPdLi16ELi16EEviT3_ilPT2_i.has_recursion, 0
	.set _ZL40rocblas_copy_triangular_syrk_herk_kernelILb1ELb1ELb0EdPdLi16ELi16EEviT3_ilPT2_i.has_indirect_call, 0
	.section	.AMDGPU.csdata,"",@progbits
; Kernel info:
; codeLenInByte = 496
; TotalNumSgprs: 23
; NumVgprs: 9
; ScratchSize: 0
; MemoryBound: 0
; FloatMode: 240
; IeeeMode: 1
; LDSByteSize: 0 bytes/workgroup (compile time only)
; SGPRBlocks: 0
; VGPRBlocks: 0
; NumSGPRsForWavesPerEU: 23
; NumVGPRsForWavesPerEU: 9
; NamedBarCnt: 0
; Occupancy: 16
; WaveLimiterHint : 0
; COMPUTE_PGM_RSRC2:SCRATCH_EN: 0
; COMPUTE_PGM_RSRC2:USER_SGPR: 2
; COMPUTE_PGM_RSRC2:TRAP_HANDLER: 0
; COMPUTE_PGM_RSRC2:TGID_X_EN: 1
; COMPUTE_PGM_RSRC2:TGID_Y_EN: 1
; COMPUTE_PGM_RSRC2:TGID_Z_EN: 1
; COMPUTE_PGM_RSRC2:TIDIG_COMP_CNT: 1
	.section	.text._ZL40rocblas_copy_triangular_syrk_herk_kernelILb1ELb0ELb0EdPdLi16ELi16EEviT3_ilPT2_i,"axG",@progbits,_ZL40rocblas_copy_triangular_syrk_herk_kernelILb1ELb0ELb0EdPdLi16ELi16EEviT3_ilPT2_i,comdat
	.globl	_ZL40rocblas_copy_triangular_syrk_herk_kernelILb1ELb0ELb0EdPdLi16ELi16EEviT3_ilPT2_i ; -- Begin function _ZL40rocblas_copy_triangular_syrk_herk_kernelILb1ELb0ELb0EdPdLi16ELi16EEviT3_ilPT2_i
	.p2align	8
	.type	_ZL40rocblas_copy_triangular_syrk_herk_kernelILb1ELb0ELb0EdPdLi16ELi16EEviT3_ilPT2_i,@function
_ZL40rocblas_copy_triangular_syrk_herk_kernelILb1ELb0ELb0EdPdLi16ELi16EEviT3_ilPT2_i: ; @_ZL40rocblas_copy_triangular_syrk_herk_kernelILb1ELb0ELb0EdPdLi16ELi16EEviT3_ilPT2_i
; %bb.0:
	s_load_b32 s11, s[0:1], 0x28
	s_bfe_u32 s2, ttmp6, 0x40014
	s_lshr_b32 s3, ttmp7, 16
	s_add_co_i32 s2, s2, 1
	s_bfe_u32 s5, ttmp6, 0x40008
	s_mul_i32 s2, s3, s2
	s_getreg_b32 s4, hwreg(HW_REG_IB_STS2, 6, 4)
	s_add_co_i32 s5, s5, s2
	s_cmp_eq_u32 s4, 0
	s_cselect_b32 s2, s3, s5
	s_mov_b32 s3, 0
	s_wait_kmcnt 0x0
	s_cmp_ge_u32 s2, s11
	s_cbranch_scc1 .LBB5_5
; %bb.1:
	s_clause 0x2
	s_load_b32 s14, s[0:1], 0x0
	s_load_b96 s[8:10], s[0:1], 0x8
	s_load_b32 s16, s[0:1], 0x3c
	s_bfe_u32 s12, ttmp6, 0x4000c
	s_bfe_u32 s5, ttmp6, 0x40010
	s_add_co_i32 s12, s12, 1
	s_and_b32 s17, ttmp7, 0xffff
	s_mul_i32 s19, ttmp9, s12
	s_add_co_i32 s5, s5, 1
	s_bfe_u32 s6, ttmp6, 0x40004
	s_mul_i32 s5, s17, s5
	s_mov_b32 s7, s3
	s_add_co_i32 s20, s6, s5
	s_and_b32 s18, ttmp6, 15
	v_and_b32_e32 v1, 0x3ff, v0
	s_add_co_i32 s18, s18, s19
	v_bfe_u32 v0, v0, 10, 10
	s_wait_kmcnt 0x0
	s_add_co_i32 s12, s14, -1
	s_ashr_i32 s15, s14, 31
	s_ashr_i32 s13, s12, 31
	;; [unrolled: 1-line block ×3, first 2 shown]
	s_mul_u64 s[12:13], s[12:13], s[14:15]
	s_lshr_b32 s15, s16, 16
	s_lshr_b32 s6, s13, 31
	s_and_b32 s16, s16, 0xffff
	s_add_nc_u64 s[6:7], s[12:13], s[6:7]
	s_delay_alu instid0(SALU_CYCLE_1)
	s_ashr_i64 s[12:13], s[6:7], 1
	s_cmp_eq_u32 s4, 0
	s_cselect_b32 s4, ttmp9, s18
	s_cselect_b32 s6, s17, s20
	v_mad_u32 v2, s4, s16, v1
	v_mad_u32 v4, s6, s15, v0
	s_mov_b32 s4, s10
	s_delay_alu instid0(VALU_DEP_1) | instskip(SKIP_2) | instid1(VALU_DEP_3)
	v_dual_ashrrev_i32 v3, 31, v2 :: v_dual_max_i32 v9, v4, v2
	v_not_b32_e32 v8, v4
	v_cmp_lt_i32_e32 vcc_lo, v4, v2
	v_mul_u64_e32 v[0:1], s[4:5], v[2:3]
	s_load_b128 s[4:7], s[0:1], 0x18
	s_delay_alu instid0(VALU_DEP_3) | instskip(SKIP_2) | instid1(VALU_DEP_2)
	v_lshl_add_u32 v3, s14, 1, v8
	s_wait_xcnt 0x0
	v_cmp_gt_i32_e64 s0, s14, v9
	v_mul_lo_u32 v3, v3, v4
	s_and_b32 s0, vcc_lo, s0
	s_delay_alu instid0(VALU_DEP_1) | instskip(NEXT) | instid1(VALU_DEP_1)
	v_lshrrev_b32_e32 v5, 31, v3
	v_dual_add_nc_u32 v3, v3, v5 :: v_dual_ashrrev_i32 v5, 31, v4
	s_delay_alu instid0(VALU_DEP_1) | instskip(SKIP_1) | instid1(VALU_DEP_2)
	v_ashrrev_i32_e32 v3, 1, v3
	v_lshl_add_u64 v[6:7], v[0:1], 3, s[8:9]
	v_add3_u32 v0, v2, v8, v3
	s_delay_alu instid0(VALU_DEP_2) | instskip(NEXT) | instid1(VALU_DEP_2)
	v_lshl_add_u64 v[2:3], v[4:5], 3, v[6:7]
	v_ashrrev_i32_e32 v1, 31, v0
	s_branch .LBB5_3
.LBB5_2:                                ;   in Loop: Header=BB5_3 Depth=1
	s_wait_xcnt 0x0
	s_or_b32 exec_lo, exec_lo, s1
	s_add_co_i32 s2, s2, 0x10000
	s_delay_alu instid0(SALU_CYCLE_1)
	s_cmp_lt_u32 s2, s11
	s_cbranch_scc0 .LBB5_5
.LBB5_3:                                ; =>This Inner Loop Header: Depth=1
	s_mul_u64 s[8:9], s[12:13], s[2:3]
	s_delay_alu instid0(SALU_CYCLE_1)
	s_lshl_b64 s[8:9], s[8:9], 3
	s_wait_kmcnt 0x0
	s_add_nc_u64 s[6:7], s[6:7], s[8:9]
	s_and_saveexec_b32 s1, s0
	s_cbranch_execz .LBB5_2
; %bb.4:                                ;   in Loop: Header=BB5_3 Depth=1
	s_mul_u64 s[8:9], s[4:5], s[2:3]
	v_lshl_add_u64 v[6:7], v[0:1], 3, s[6:7]
	v_lshl_add_u64 v[4:5], s[8:9], 3, v[2:3]
	global_load_b64 v[4:5], v[4:5], off
	s_wait_loadcnt 0x0
	global_store_b64 v[6:7], v[4:5], off
	s_branch .LBB5_2
.LBB5_5:
	s_endpgm
	.section	.rodata,"a",@progbits
	.p2align	6, 0x0
	.amdhsa_kernel _ZL40rocblas_copy_triangular_syrk_herk_kernelILb1ELb0ELb0EdPdLi16ELi16EEviT3_ilPT2_i
		.amdhsa_group_segment_fixed_size 0
		.amdhsa_private_segment_fixed_size 0
		.amdhsa_kernarg_size 304
		.amdhsa_user_sgpr_count 2
		.amdhsa_user_sgpr_dispatch_ptr 0
		.amdhsa_user_sgpr_queue_ptr 0
		.amdhsa_user_sgpr_kernarg_segment_ptr 1
		.amdhsa_user_sgpr_dispatch_id 0
		.amdhsa_user_sgpr_kernarg_preload_length 0
		.amdhsa_user_sgpr_kernarg_preload_offset 0
		.amdhsa_user_sgpr_private_segment_size 0
		.amdhsa_wavefront_size32 1
		.amdhsa_uses_dynamic_stack 0
		.amdhsa_enable_private_segment 0
		.amdhsa_system_sgpr_workgroup_id_x 1
		.amdhsa_system_sgpr_workgroup_id_y 1
		.amdhsa_system_sgpr_workgroup_id_z 1
		.amdhsa_system_sgpr_workgroup_info 0
		.amdhsa_system_vgpr_workitem_id 1
		.amdhsa_next_free_vgpr 10
		.amdhsa_next_free_sgpr 21
		.amdhsa_named_barrier_count 0
		.amdhsa_reserve_vcc 1
		.amdhsa_float_round_mode_32 0
		.amdhsa_float_round_mode_16_64 0
		.amdhsa_float_denorm_mode_32 3
		.amdhsa_float_denorm_mode_16_64 3
		.amdhsa_fp16_overflow 0
		.amdhsa_memory_ordered 1
		.amdhsa_forward_progress 1
		.amdhsa_inst_pref_size 4
		.amdhsa_round_robin_scheduling 0
		.amdhsa_exception_fp_ieee_invalid_op 0
		.amdhsa_exception_fp_denorm_src 0
		.amdhsa_exception_fp_ieee_div_zero 0
		.amdhsa_exception_fp_ieee_overflow 0
		.amdhsa_exception_fp_ieee_underflow 0
		.amdhsa_exception_fp_ieee_inexact 0
		.amdhsa_exception_int_div_zero 0
	.end_amdhsa_kernel
	.section	.text._ZL40rocblas_copy_triangular_syrk_herk_kernelILb1ELb0ELb0EdPdLi16ELi16EEviT3_ilPT2_i,"axG",@progbits,_ZL40rocblas_copy_triangular_syrk_herk_kernelILb1ELb0ELb0EdPdLi16ELi16EEviT3_ilPT2_i,comdat
.Lfunc_end5:
	.size	_ZL40rocblas_copy_triangular_syrk_herk_kernelILb1ELb0ELb0EdPdLi16ELi16EEviT3_ilPT2_i, .Lfunc_end5-_ZL40rocblas_copy_triangular_syrk_herk_kernelILb1ELb0ELb0EdPdLi16ELi16EEviT3_ilPT2_i
                                        ; -- End function
	.set _ZL40rocblas_copy_triangular_syrk_herk_kernelILb1ELb0ELb0EdPdLi16ELi16EEviT3_ilPT2_i.num_vgpr, 10
	.set _ZL40rocblas_copy_triangular_syrk_herk_kernelILb1ELb0ELb0EdPdLi16ELi16EEviT3_ilPT2_i.num_agpr, 0
	.set _ZL40rocblas_copy_triangular_syrk_herk_kernelILb1ELb0ELb0EdPdLi16ELi16EEviT3_ilPT2_i.numbered_sgpr, 21
	.set _ZL40rocblas_copy_triangular_syrk_herk_kernelILb1ELb0ELb0EdPdLi16ELi16EEviT3_ilPT2_i.num_named_barrier, 0
	.set _ZL40rocblas_copy_triangular_syrk_herk_kernelILb1ELb0ELb0EdPdLi16ELi16EEviT3_ilPT2_i.private_seg_size, 0
	.set _ZL40rocblas_copy_triangular_syrk_herk_kernelILb1ELb0ELb0EdPdLi16ELi16EEviT3_ilPT2_i.uses_vcc, 1
	.set _ZL40rocblas_copy_triangular_syrk_herk_kernelILb1ELb0ELb0EdPdLi16ELi16EEviT3_ilPT2_i.uses_flat_scratch, 0
	.set _ZL40rocblas_copy_triangular_syrk_herk_kernelILb1ELb0ELb0EdPdLi16ELi16EEviT3_ilPT2_i.has_dyn_sized_stack, 0
	.set _ZL40rocblas_copy_triangular_syrk_herk_kernelILb1ELb0ELb0EdPdLi16ELi16EEviT3_ilPT2_i.has_recursion, 0
	.set _ZL40rocblas_copy_triangular_syrk_herk_kernelILb1ELb0ELb0EdPdLi16ELi16EEviT3_ilPT2_i.has_indirect_call, 0
	.section	.AMDGPU.csdata,"",@progbits
; Kernel info:
; codeLenInByte = 508
; TotalNumSgprs: 23
; NumVgprs: 10
; ScratchSize: 0
; MemoryBound: 0
; FloatMode: 240
; IeeeMode: 1
; LDSByteSize: 0 bytes/workgroup (compile time only)
; SGPRBlocks: 0
; VGPRBlocks: 0
; NumSGPRsForWavesPerEU: 23
; NumVGPRsForWavesPerEU: 10
; NamedBarCnt: 0
; Occupancy: 16
; WaveLimiterHint : 0
; COMPUTE_PGM_RSRC2:SCRATCH_EN: 0
; COMPUTE_PGM_RSRC2:USER_SGPR: 2
; COMPUTE_PGM_RSRC2:TRAP_HANDLER: 0
; COMPUTE_PGM_RSRC2:TGID_X_EN: 1
; COMPUTE_PGM_RSRC2:TGID_Y_EN: 1
; COMPUTE_PGM_RSRC2:TGID_Z_EN: 1
; COMPUTE_PGM_RSRC2:TIDIG_COMP_CNT: 1
	.section	.text._ZL40rocblas_copy_triangular_syrk_herk_kernelILb0ELb1ELb0EdPdLi16ELi16EEviT3_ilPT2_i,"axG",@progbits,_ZL40rocblas_copy_triangular_syrk_herk_kernelILb0ELb1ELb0EdPdLi16ELi16EEviT3_ilPT2_i,comdat
	.globl	_ZL40rocblas_copy_triangular_syrk_herk_kernelILb0ELb1ELb0EdPdLi16ELi16EEviT3_ilPT2_i ; -- Begin function _ZL40rocblas_copy_triangular_syrk_herk_kernelILb0ELb1ELb0EdPdLi16ELi16EEviT3_ilPT2_i
	.p2align	8
	.type	_ZL40rocblas_copy_triangular_syrk_herk_kernelILb0ELb1ELb0EdPdLi16ELi16EEviT3_ilPT2_i,@function
_ZL40rocblas_copy_triangular_syrk_herk_kernelILb0ELb1ELb0EdPdLi16ELi16EEviT3_ilPT2_i: ; @_ZL40rocblas_copy_triangular_syrk_herk_kernelILb0ELb1ELb0EdPdLi16ELi16EEviT3_ilPT2_i
; %bb.0:
	s_load_b32 s11, s[0:1], 0x28
	s_bfe_u32 s2, ttmp6, 0x40014
	s_lshr_b32 s3, ttmp7, 16
	s_add_co_i32 s2, s2, 1
	s_bfe_u32 s5, ttmp6, 0x40008
	s_mul_i32 s2, s3, s2
	s_getreg_b32 s4, hwreg(HW_REG_IB_STS2, 6, 4)
	s_add_co_i32 s5, s5, s2
	s_cmp_eq_u32 s4, 0
	s_cselect_b32 s2, s3, s5
	s_mov_b32 s3, 0
	s_wait_kmcnt 0x0
	s_cmp_ge_u32 s2, s11
	s_cbranch_scc1 .LBB6_5
; %bb.1:
	s_clause 0x2
	s_load_b32 s14, s[0:1], 0x0
	s_load_b96 s[8:10], s[0:1], 0x8
	s_load_b32 s16, s[0:1], 0x3c
	s_bfe_u32 s12, ttmp6, 0x4000c
	s_bfe_u32 s5, ttmp6, 0x40010
	s_add_co_i32 s12, s12, 1
	s_and_b32 s17, ttmp7, 0xffff
	s_mul_i32 s19, ttmp9, s12
	s_add_co_i32 s5, s5, 1
	s_bfe_u32 s6, ttmp6, 0x40004
	s_mul_i32 s5, s17, s5
	s_mov_b32 s7, s3
	s_add_co_i32 s20, s6, s5
	s_and_b32 s18, ttmp6, 15
	v_and_b32_e32 v1, 0x3ff, v0
	s_add_co_i32 s18, s18, s19
	v_bfe_u32 v0, v0, 10, 10
	s_wait_kmcnt 0x0
	s_add_co_i32 s12, s14, -1
	s_ashr_i32 s15, s14, 31
	s_ashr_i32 s13, s12, 31
	;; [unrolled: 1-line block ×3, first 2 shown]
	s_mul_u64 s[12:13], s[12:13], s[14:15]
	s_lshr_b32 s15, s16, 16
	s_lshr_b32 s6, s13, 31
	s_and_b32 s16, s16, 0xffff
	s_add_nc_u64 s[6:7], s[12:13], s[6:7]
	s_delay_alu instid0(SALU_CYCLE_1) | instskip(SKIP_2) | instid1(SALU_CYCLE_1)
	s_ashr_i64 s[12:13], s[6:7], 1
	s_cmp_eq_u32 s4, 0
	s_cselect_b32 s4, ttmp9, s18
	v_mad_u32 v2, s4, s16, v1
	s_cselect_b32 s4, s17, s20
	s_delay_alu instid0(SALU_CYCLE_1) | instskip(SKIP_1) | instid1(VALU_DEP_1)
	v_mad_u32 v4, s4, s15, v0
	s_mov_b32 s4, s10
	v_dual_ashrrev_i32 v3, 31, v2 :: v_dual_add_nc_u32 v0, -1, v4
	v_ashrrev_i32_e32 v5, 31, v4
	s_delay_alu instid0(VALU_DEP_2) | instskip(SKIP_4) | instid1(VALU_DEP_1)
	v_mul_u64_e32 v[6:7], s[4:5], v[2:3]
	s_load_b128 s[4:7], s[0:1], 0x18
	s_wait_xcnt 0x0
	v_cmp_gt_i32_e64 s0, v4, v2
	v_mul_lo_u32 v0, v0, v4
	v_lshrrev_b32_e32 v1, 31, v0
	s_delay_alu instid0(VALU_DEP_1) | instskip(NEXT) | instid1(VALU_DEP_1)
	v_add_nc_u32_e32 v0, v0, v1
	v_dual_ashrrev_i32 v0, 1, v0 :: v_dual_max_i32 v1, v4, v2
	s_delay_alu instid0(VALU_DEP_1) | instskip(NEXT) | instid1(VALU_DEP_2)
	v_cmp_gt_i32_e32 vcc_lo, s14, v1
	v_add_nc_u32_e32 v0, v0, v2
	s_and_b32 s0, s0, vcc_lo
	v_lshl_add_u64 v[6:7], v[6:7], 3, s[8:9]
	s_delay_alu instid0(VALU_DEP_2) | instskip(NEXT) | instid1(VALU_DEP_2)
	v_ashrrev_i32_e32 v1, 31, v0
	v_lshl_add_u64 v[2:3], v[4:5], 3, v[6:7]
	s_branch .LBB6_3
.LBB6_2:                                ;   in Loop: Header=BB6_3 Depth=1
	s_wait_xcnt 0x0
	s_or_b32 exec_lo, exec_lo, s1
	s_add_co_i32 s2, s2, 0x10000
	s_delay_alu instid0(SALU_CYCLE_1)
	s_cmp_lt_u32 s2, s11
	s_cbranch_scc0 .LBB6_5
.LBB6_3:                                ; =>This Inner Loop Header: Depth=1
	s_mul_u64 s[8:9], s[12:13], s[2:3]
	s_delay_alu instid0(SALU_CYCLE_1)
	s_lshl_b64 s[8:9], s[8:9], 3
	s_wait_kmcnt 0x0
	s_add_nc_u64 s[6:7], s[6:7], s[8:9]
	s_and_saveexec_b32 s1, s0
	s_cbranch_execz .LBB6_2
; %bb.4:                                ;   in Loop: Header=BB6_3 Depth=1
	v_lshl_add_u64 v[4:5], v[0:1], 3, s[6:7]
	s_mul_u64 s[8:9], s[4:5], s[2:3]
	s_delay_alu instid0(SALU_CYCLE_1)
	v_lshl_add_u64 v[6:7], s[8:9], 3, v[2:3]
	global_load_b64 v[4:5], v[4:5], off
	s_wait_loadcnt 0x0
	global_store_b64 v[6:7], v[4:5], off
	s_branch .LBB6_2
.LBB6_5:
	s_endpgm
	.section	.rodata,"a",@progbits
	.p2align	6, 0x0
	.amdhsa_kernel _ZL40rocblas_copy_triangular_syrk_herk_kernelILb0ELb1ELb0EdPdLi16ELi16EEviT3_ilPT2_i
		.amdhsa_group_segment_fixed_size 0
		.amdhsa_private_segment_fixed_size 0
		.amdhsa_kernarg_size 304
		.amdhsa_user_sgpr_count 2
		.amdhsa_user_sgpr_dispatch_ptr 0
		.amdhsa_user_sgpr_queue_ptr 0
		.amdhsa_user_sgpr_kernarg_segment_ptr 1
		.amdhsa_user_sgpr_dispatch_id 0
		.amdhsa_user_sgpr_kernarg_preload_length 0
		.amdhsa_user_sgpr_kernarg_preload_offset 0
		.amdhsa_user_sgpr_private_segment_size 0
		.amdhsa_wavefront_size32 1
		.amdhsa_uses_dynamic_stack 0
		.amdhsa_enable_private_segment 0
		.amdhsa_system_sgpr_workgroup_id_x 1
		.amdhsa_system_sgpr_workgroup_id_y 1
		.amdhsa_system_sgpr_workgroup_id_z 1
		.amdhsa_system_sgpr_workgroup_info 0
		.amdhsa_system_vgpr_workitem_id 1
		.amdhsa_next_free_vgpr 8
		.amdhsa_next_free_sgpr 21
		.amdhsa_named_barrier_count 0
		.amdhsa_reserve_vcc 1
		.amdhsa_float_round_mode_32 0
		.amdhsa_float_round_mode_16_64 0
		.amdhsa_float_denorm_mode_32 3
		.amdhsa_float_denorm_mode_16_64 3
		.amdhsa_fp16_overflow 0
		.amdhsa_memory_ordered 1
		.amdhsa_forward_progress 1
		.amdhsa_inst_pref_size 4
		.amdhsa_round_robin_scheduling 0
		.amdhsa_exception_fp_ieee_invalid_op 0
		.amdhsa_exception_fp_denorm_src 0
		.amdhsa_exception_fp_ieee_div_zero 0
		.amdhsa_exception_fp_ieee_overflow 0
		.amdhsa_exception_fp_ieee_underflow 0
		.amdhsa_exception_fp_ieee_inexact 0
		.amdhsa_exception_int_div_zero 0
	.end_amdhsa_kernel
	.section	.text._ZL40rocblas_copy_triangular_syrk_herk_kernelILb0ELb1ELb0EdPdLi16ELi16EEviT3_ilPT2_i,"axG",@progbits,_ZL40rocblas_copy_triangular_syrk_herk_kernelILb0ELb1ELb0EdPdLi16ELi16EEviT3_ilPT2_i,comdat
.Lfunc_end6:
	.size	_ZL40rocblas_copy_triangular_syrk_herk_kernelILb0ELb1ELb0EdPdLi16ELi16EEviT3_ilPT2_i, .Lfunc_end6-_ZL40rocblas_copy_triangular_syrk_herk_kernelILb0ELb1ELb0EdPdLi16ELi16EEviT3_ilPT2_i
                                        ; -- End function
	.set _ZL40rocblas_copy_triangular_syrk_herk_kernelILb0ELb1ELb0EdPdLi16ELi16EEviT3_ilPT2_i.num_vgpr, 8
	.set _ZL40rocblas_copy_triangular_syrk_herk_kernelILb0ELb1ELb0EdPdLi16ELi16EEviT3_ilPT2_i.num_agpr, 0
	.set _ZL40rocblas_copy_triangular_syrk_herk_kernelILb0ELb1ELb0EdPdLi16ELi16EEviT3_ilPT2_i.numbered_sgpr, 21
	.set _ZL40rocblas_copy_triangular_syrk_herk_kernelILb0ELb1ELb0EdPdLi16ELi16EEviT3_ilPT2_i.num_named_barrier, 0
	.set _ZL40rocblas_copy_triangular_syrk_herk_kernelILb0ELb1ELb0EdPdLi16ELi16EEviT3_ilPT2_i.private_seg_size, 0
	.set _ZL40rocblas_copy_triangular_syrk_herk_kernelILb0ELb1ELb0EdPdLi16ELi16EEviT3_ilPT2_i.uses_vcc, 1
	.set _ZL40rocblas_copy_triangular_syrk_herk_kernelILb0ELb1ELb0EdPdLi16ELi16EEviT3_ilPT2_i.uses_flat_scratch, 0
	.set _ZL40rocblas_copy_triangular_syrk_herk_kernelILb0ELb1ELb0EdPdLi16ELi16EEviT3_ilPT2_i.has_dyn_sized_stack, 0
	.set _ZL40rocblas_copy_triangular_syrk_herk_kernelILb0ELb1ELb0EdPdLi16ELi16EEviT3_ilPT2_i.has_recursion, 0
	.set _ZL40rocblas_copy_triangular_syrk_herk_kernelILb0ELb1ELb0EdPdLi16ELi16EEviT3_ilPT2_i.has_indirect_call, 0
	.section	.AMDGPU.csdata,"",@progbits
; Kernel info:
; codeLenInByte = 500
; TotalNumSgprs: 23
; NumVgprs: 8
; ScratchSize: 0
; MemoryBound: 0
; FloatMode: 240
; IeeeMode: 1
; LDSByteSize: 0 bytes/workgroup (compile time only)
; SGPRBlocks: 0
; VGPRBlocks: 0
; NumSGPRsForWavesPerEU: 23
; NumVGPRsForWavesPerEU: 8
; NamedBarCnt: 0
; Occupancy: 16
; WaveLimiterHint : 0
; COMPUTE_PGM_RSRC2:SCRATCH_EN: 0
; COMPUTE_PGM_RSRC2:USER_SGPR: 2
; COMPUTE_PGM_RSRC2:TRAP_HANDLER: 0
; COMPUTE_PGM_RSRC2:TGID_X_EN: 1
; COMPUTE_PGM_RSRC2:TGID_Y_EN: 1
; COMPUTE_PGM_RSRC2:TGID_Z_EN: 1
; COMPUTE_PGM_RSRC2:TIDIG_COMP_CNT: 1
	.section	.text._ZL40rocblas_copy_triangular_syrk_herk_kernelILb0ELb0ELb0EdPdLi16ELi16EEviT3_ilPT2_i,"axG",@progbits,_ZL40rocblas_copy_triangular_syrk_herk_kernelILb0ELb0ELb0EdPdLi16ELi16EEviT3_ilPT2_i,comdat
	.globl	_ZL40rocblas_copy_triangular_syrk_herk_kernelILb0ELb0ELb0EdPdLi16ELi16EEviT3_ilPT2_i ; -- Begin function _ZL40rocblas_copy_triangular_syrk_herk_kernelILb0ELb0ELb0EdPdLi16ELi16EEviT3_ilPT2_i
	.p2align	8
	.type	_ZL40rocblas_copy_triangular_syrk_herk_kernelILb0ELb0ELb0EdPdLi16ELi16EEviT3_ilPT2_i,@function
_ZL40rocblas_copy_triangular_syrk_herk_kernelILb0ELb0ELb0EdPdLi16ELi16EEviT3_ilPT2_i: ; @_ZL40rocblas_copy_triangular_syrk_herk_kernelILb0ELb0ELb0EdPdLi16ELi16EEviT3_ilPT2_i
; %bb.0:
	s_load_b32 s11, s[0:1], 0x28
	s_bfe_u32 s2, ttmp6, 0x40014
	s_lshr_b32 s3, ttmp7, 16
	s_add_co_i32 s2, s2, 1
	s_bfe_u32 s5, ttmp6, 0x40008
	s_mul_i32 s2, s3, s2
	s_getreg_b32 s4, hwreg(HW_REG_IB_STS2, 6, 4)
	s_add_co_i32 s5, s5, s2
	s_cmp_eq_u32 s4, 0
	s_cselect_b32 s2, s3, s5
	s_mov_b32 s3, 0
	s_wait_kmcnt 0x0
	s_cmp_ge_u32 s2, s11
	s_cbranch_scc1 .LBB7_5
; %bb.1:
	s_clause 0x2
	s_load_b32 s14, s[0:1], 0x0
	s_load_b96 s[8:10], s[0:1], 0x8
	s_load_b32 s16, s[0:1], 0x3c
	s_bfe_u32 s12, ttmp6, 0x4000c
	s_bfe_u32 s5, ttmp6, 0x40010
	s_add_co_i32 s12, s12, 1
	s_and_b32 s17, ttmp7, 0xffff
	s_mul_i32 s19, ttmp9, s12
	s_add_co_i32 s5, s5, 1
	s_bfe_u32 s6, ttmp6, 0x40004
	s_mul_i32 s5, s17, s5
	s_mov_b32 s7, s3
	s_add_co_i32 s20, s6, s5
	s_and_b32 s18, ttmp6, 15
	v_and_b32_e32 v1, 0x3ff, v0
	v_bfe_u32 v0, v0, 10, 10
	s_add_co_i32 s18, s18, s19
	s_wait_kmcnt 0x0
	s_add_co_i32 s12, s14, -1
	s_ashr_i32 s15, s14, 31
	s_ashr_i32 s13, s12, 31
	;; [unrolled: 1-line block ×3, first 2 shown]
	s_mul_u64 s[12:13], s[12:13], s[14:15]
	s_lshr_b32 s15, s16, 16
	s_lshr_b32 s6, s13, 31
	s_and_b32 s16, s16, 0xffff
	s_add_nc_u64 s[6:7], s[12:13], s[6:7]
	s_delay_alu instid0(SALU_CYCLE_1)
	s_ashr_i64 s[12:13], s[6:7], 1
	s_cmp_eq_u32 s4, 0
	s_cselect_b32 s4, s17, s20
	s_cselect_b32 s6, ttmp9, s18
	v_mad_u32 v2, s4, s15, v0
	v_mad_u32 v4, s6, s16, v1
	s_mov_b32 s4, s10
	s_delay_alu instid0(VALU_DEP_2) | instskip(NEXT) | instid1(VALU_DEP_1)
	v_not_b32_e32 v0, v2
	v_lshl_add_u32 v1, s14, 1, v0
	s_delay_alu instid0(VALU_DEP_1) | instskip(NEXT) | instid1(VALU_DEP_1)
	v_mul_lo_u32 v1, v1, v2
	v_dual_ashrrev_i32 v5, 31, v4 :: v_dual_lshrrev_b32 v3, 31, v1
	s_delay_alu instid0(VALU_DEP_1)
	v_mul_u64_e32 v[6:7], s[4:5], v[4:5]
	s_load_b128 s[4:7], s[0:1], 0x18
	s_wait_xcnt 0x0
	v_cmp_lt_i32_e64 s0, v2, v4
	v_dual_add_nc_u32 v1, v1, v3 :: v_dual_max_i32 v5, v2, v4
	v_ashrrev_i32_e32 v3, 31, v2
	s_delay_alu instid0(VALU_DEP_2) | instskip(NEXT) | instid1(VALU_DEP_3)
	v_cmp_gt_i32_e32 vcc_lo, s14, v5
	v_ashrrev_i32_e32 v1, 1, v1
	s_and_b32 s0, s0, vcc_lo
	s_delay_alu instid0(VALU_DEP_1) | instskip(NEXT) | instid1(VALU_DEP_1)
	v_add3_u32 v0, v4, v0, v1
	v_ashrrev_i32_e32 v1, 31, v0
	v_lshl_add_u64 v[6:7], v[6:7], 3, s[8:9]
	s_delay_alu instid0(VALU_DEP_1)
	v_lshl_add_u64 v[2:3], v[2:3], 3, v[6:7]
	s_branch .LBB7_3
.LBB7_2:                                ;   in Loop: Header=BB7_3 Depth=1
	s_wait_xcnt 0x0
	s_or_b32 exec_lo, exec_lo, s1
	s_add_co_i32 s2, s2, 0x10000
	s_delay_alu instid0(SALU_CYCLE_1)
	s_cmp_lt_u32 s2, s11
	s_cbranch_scc0 .LBB7_5
.LBB7_3:                                ; =>This Inner Loop Header: Depth=1
	s_mul_u64 s[8:9], s[12:13], s[2:3]
	s_delay_alu instid0(SALU_CYCLE_1)
	s_lshl_b64 s[8:9], s[8:9], 3
	s_wait_kmcnt 0x0
	s_add_nc_u64 s[6:7], s[6:7], s[8:9]
	s_and_saveexec_b32 s1, s0
	s_cbranch_execz .LBB7_2
; %bb.4:                                ;   in Loop: Header=BB7_3 Depth=1
	v_lshl_add_u64 v[4:5], v[0:1], 3, s[6:7]
	s_mul_u64 s[8:9], s[4:5], s[2:3]
	s_delay_alu instid0(SALU_CYCLE_1)
	v_lshl_add_u64 v[6:7], s[8:9], 3, v[2:3]
	global_load_b64 v[4:5], v[4:5], off
	s_wait_loadcnt 0x0
	global_store_b64 v[6:7], v[4:5], off
	s_branch .LBB7_2
.LBB7_5:
	s_endpgm
	.section	.rodata,"a",@progbits
	.p2align	6, 0x0
	.amdhsa_kernel _ZL40rocblas_copy_triangular_syrk_herk_kernelILb0ELb0ELb0EdPdLi16ELi16EEviT3_ilPT2_i
		.amdhsa_group_segment_fixed_size 0
		.amdhsa_private_segment_fixed_size 0
		.amdhsa_kernarg_size 304
		.amdhsa_user_sgpr_count 2
		.amdhsa_user_sgpr_dispatch_ptr 0
		.amdhsa_user_sgpr_queue_ptr 0
		.amdhsa_user_sgpr_kernarg_segment_ptr 1
		.amdhsa_user_sgpr_dispatch_id 0
		.amdhsa_user_sgpr_kernarg_preload_length 0
		.amdhsa_user_sgpr_kernarg_preload_offset 0
		.amdhsa_user_sgpr_private_segment_size 0
		.amdhsa_wavefront_size32 1
		.amdhsa_uses_dynamic_stack 0
		.amdhsa_enable_private_segment 0
		.amdhsa_system_sgpr_workgroup_id_x 1
		.amdhsa_system_sgpr_workgroup_id_y 1
		.amdhsa_system_sgpr_workgroup_id_z 1
		.amdhsa_system_sgpr_workgroup_info 0
		.amdhsa_system_vgpr_workitem_id 1
		.amdhsa_next_free_vgpr 8
		.amdhsa_next_free_sgpr 21
		.amdhsa_named_barrier_count 0
		.amdhsa_reserve_vcc 1
		.amdhsa_float_round_mode_32 0
		.amdhsa_float_round_mode_16_64 0
		.amdhsa_float_denorm_mode_32 3
		.amdhsa_float_denorm_mode_16_64 3
		.amdhsa_fp16_overflow 0
		.amdhsa_memory_ordered 1
		.amdhsa_forward_progress 1
		.amdhsa_inst_pref_size 5
		.amdhsa_round_robin_scheduling 0
		.amdhsa_exception_fp_ieee_invalid_op 0
		.amdhsa_exception_fp_denorm_src 0
		.amdhsa_exception_fp_ieee_div_zero 0
		.amdhsa_exception_fp_ieee_overflow 0
		.amdhsa_exception_fp_ieee_underflow 0
		.amdhsa_exception_fp_ieee_inexact 0
		.amdhsa_exception_int_div_zero 0
	.end_amdhsa_kernel
	.section	.text._ZL40rocblas_copy_triangular_syrk_herk_kernelILb0ELb0ELb0EdPdLi16ELi16EEviT3_ilPT2_i,"axG",@progbits,_ZL40rocblas_copy_triangular_syrk_herk_kernelILb0ELb0ELb0EdPdLi16ELi16EEviT3_ilPT2_i,comdat
.Lfunc_end7:
	.size	_ZL40rocblas_copy_triangular_syrk_herk_kernelILb0ELb0ELb0EdPdLi16ELi16EEviT3_ilPT2_i, .Lfunc_end7-_ZL40rocblas_copy_triangular_syrk_herk_kernelILb0ELb0ELb0EdPdLi16ELi16EEviT3_ilPT2_i
                                        ; -- End function
	.set _ZL40rocblas_copy_triangular_syrk_herk_kernelILb0ELb0ELb0EdPdLi16ELi16EEviT3_ilPT2_i.num_vgpr, 8
	.set _ZL40rocblas_copy_triangular_syrk_herk_kernelILb0ELb0ELb0EdPdLi16ELi16EEviT3_ilPT2_i.num_agpr, 0
	.set _ZL40rocblas_copy_triangular_syrk_herk_kernelILb0ELb0ELb0EdPdLi16ELi16EEviT3_ilPT2_i.numbered_sgpr, 21
	.set _ZL40rocblas_copy_triangular_syrk_herk_kernelILb0ELb0ELb0EdPdLi16ELi16EEviT3_ilPT2_i.num_named_barrier, 0
	.set _ZL40rocblas_copy_triangular_syrk_herk_kernelILb0ELb0ELb0EdPdLi16ELi16EEviT3_ilPT2_i.private_seg_size, 0
	.set _ZL40rocblas_copy_triangular_syrk_herk_kernelILb0ELb0ELb0EdPdLi16ELi16EEviT3_ilPT2_i.uses_vcc, 1
	.set _ZL40rocblas_copy_triangular_syrk_herk_kernelILb0ELb0ELb0EdPdLi16ELi16EEviT3_ilPT2_i.uses_flat_scratch, 0
	.set _ZL40rocblas_copy_triangular_syrk_herk_kernelILb0ELb0ELb0EdPdLi16ELi16EEviT3_ilPT2_i.has_dyn_sized_stack, 0
	.set _ZL40rocblas_copy_triangular_syrk_herk_kernelILb0ELb0ELb0EdPdLi16ELi16EEviT3_ilPT2_i.has_recursion, 0
	.set _ZL40rocblas_copy_triangular_syrk_herk_kernelILb0ELb0ELb0EdPdLi16ELi16EEviT3_ilPT2_i.has_indirect_call, 0
	.section	.AMDGPU.csdata,"",@progbits
; Kernel info:
; codeLenInByte = 516
; TotalNumSgprs: 23
; NumVgprs: 8
; ScratchSize: 0
; MemoryBound: 0
; FloatMode: 240
; IeeeMode: 1
; LDSByteSize: 0 bytes/workgroup (compile time only)
; SGPRBlocks: 0
; VGPRBlocks: 0
; NumSGPRsForWavesPerEU: 23
; NumVGPRsForWavesPerEU: 8
; NamedBarCnt: 0
; Occupancy: 16
; WaveLimiterHint : 0
; COMPUTE_PGM_RSRC2:SCRATCH_EN: 0
; COMPUTE_PGM_RSRC2:USER_SGPR: 2
; COMPUTE_PGM_RSRC2:TRAP_HANDLER: 0
; COMPUTE_PGM_RSRC2:TGID_X_EN: 1
; COMPUTE_PGM_RSRC2:TGID_Y_EN: 1
; COMPUTE_PGM_RSRC2:TGID_Z_EN: 1
; COMPUTE_PGM_RSRC2:TIDIG_COMP_CNT: 1
	.section	.text._ZL40rocblas_copy_triangular_syrk_herk_kernelILb1ELb1ELb0E19rocblas_complex_numIfEPS1_Li16ELi16EEviT3_ilPT2_i,"axG",@progbits,_ZL40rocblas_copy_triangular_syrk_herk_kernelILb1ELb1ELb0E19rocblas_complex_numIfEPS1_Li16ELi16EEviT3_ilPT2_i,comdat
	.globl	_ZL40rocblas_copy_triangular_syrk_herk_kernelILb1ELb1ELb0E19rocblas_complex_numIfEPS1_Li16ELi16EEviT3_ilPT2_i ; -- Begin function _ZL40rocblas_copy_triangular_syrk_herk_kernelILb1ELb1ELb0E19rocblas_complex_numIfEPS1_Li16ELi16EEviT3_ilPT2_i
	.p2align	8
	.type	_ZL40rocblas_copy_triangular_syrk_herk_kernelILb1ELb1ELb0E19rocblas_complex_numIfEPS1_Li16ELi16EEviT3_ilPT2_i,@function
_ZL40rocblas_copy_triangular_syrk_herk_kernelILb1ELb1ELb0E19rocblas_complex_numIfEPS1_Li16ELi16EEviT3_ilPT2_i: ; @_ZL40rocblas_copy_triangular_syrk_herk_kernelILb1ELb1ELb0E19rocblas_complex_numIfEPS1_Li16ELi16EEviT3_ilPT2_i
; %bb.0:
	s_load_b32 s11, s[0:1], 0x28
	s_bfe_u32 s2, ttmp6, 0x40014
	s_lshr_b32 s3, ttmp7, 16
	s_add_co_i32 s2, s2, 1
	s_bfe_u32 s5, ttmp6, 0x40008
	s_mul_i32 s2, s3, s2
	s_getreg_b32 s4, hwreg(HW_REG_IB_STS2, 6, 4)
	s_add_co_i32 s5, s5, s2
	s_cmp_eq_u32 s4, 0
	s_cselect_b32 s2, s3, s5
	s_mov_b32 s3, 0
	s_wait_kmcnt 0x0
	s_cmp_ge_u32 s2, s11
	s_cbranch_scc1 .LBB8_5
; %bb.1:
	s_clause 0x2
	s_load_b32 s14, s[0:1], 0x0
	s_load_b96 s[8:10], s[0:1], 0x8
	s_load_b32 s16, s[0:1], 0x3c
	s_bfe_u32 s12, ttmp6, 0x4000c
	s_bfe_u32 s5, ttmp6, 0x40010
	s_add_co_i32 s12, s12, 1
	s_and_b32 s17, ttmp7, 0xffff
	s_mul_i32 s19, ttmp9, s12
	s_add_co_i32 s5, s5, 1
	s_bfe_u32 s6, ttmp6, 0x40004
	s_mul_i32 s5, s17, s5
	s_mov_b32 s7, s3
	s_add_co_i32 s20, s6, s5
	s_and_b32 s18, ttmp6, 15
	v_and_b32_e32 v1, 0x3ff, v0
	s_add_co_i32 s18, s18, s19
	v_bfe_u32 v0, v0, 10, 10
	s_wait_kmcnt 0x0
	s_add_co_i32 s12, s14, -1
	s_ashr_i32 s15, s14, 31
	s_ashr_i32 s13, s12, 31
	;; [unrolled: 1-line block ×3, first 2 shown]
	s_mul_u64 s[12:13], s[12:13], s[14:15]
	s_lshr_b32 s15, s16, 16
	s_lshr_b32 s6, s13, 31
	s_and_b32 s16, s16, 0xffff
	s_add_nc_u64 s[6:7], s[12:13], s[6:7]
	s_delay_alu instid0(SALU_CYCLE_1) | instskip(SKIP_2) | instid1(SALU_CYCLE_1)
	s_ashr_i64 s[12:13], s[6:7], 1
	s_cmp_eq_u32 s4, 0
	s_cselect_b32 s4, ttmp9, s18
	v_mad_u32 v2, s4, s16, v1
	s_cselect_b32 s4, s17, s20
	s_delay_alu instid0(SALU_CYCLE_1) | instskip(SKIP_1) | instid1(VALU_DEP_1)
	v_mad_u32 v4, s4, s15, v0
	s_mov_b32 s4, s10
	v_dual_ashrrev_i32 v3, 31, v2 :: v_dual_max_i32 v8, v4, v2
	v_cmp_gt_i32_e32 vcc_lo, v4, v2
	s_delay_alu instid0(VALU_DEP_2) | instskip(SKIP_4) | instid1(VALU_DEP_2)
	v_mul_u64_e32 v[0:1], s[4:5], v[2:3]
	v_add_nc_u32_e32 v3, -1, v4
	s_load_b128 s[4:7], s[0:1], 0x18
	s_wait_xcnt 0x0
	v_cmp_gt_i32_e64 s0, s14, v8
	v_mul_lo_u32 v3, v3, v4
	s_and_b32 s0, vcc_lo, s0
	s_delay_alu instid0(VALU_DEP_1) | instskip(NEXT) | instid1(VALU_DEP_1)
	v_lshrrev_b32_e32 v5, 31, v3
	v_dual_add_nc_u32 v3, v3, v5 :: v_dual_ashrrev_i32 v5, 31, v4
	s_delay_alu instid0(VALU_DEP_1) | instskip(SKIP_1) | instid1(VALU_DEP_2)
	v_ashrrev_i32_e32 v3, 1, v3
	v_lshl_add_u64 v[6:7], v[0:1], 3, s[8:9]
	v_add_nc_u32_e32 v0, v3, v2
	s_delay_alu instid0(VALU_DEP_2) | instskip(NEXT) | instid1(VALU_DEP_2)
	v_lshl_add_u64 v[2:3], v[4:5], 3, v[6:7]
	v_ashrrev_i32_e32 v1, 31, v0
	s_branch .LBB8_3
.LBB8_2:                                ;   in Loop: Header=BB8_3 Depth=1
	s_wait_xcnt 0x0
	s_or_b32 exec_lo, exec_lo, s1
	s_add_co_i32 s2, s2, 0x10000
	s_delay_alu instid0(SALU_CYCLE_1)
	s_cmp_lt_u32 s2, s11
	s_cbranch_scc0 .LBB8_5
.LBB8_3:                                ; =>This Inner Loop Header: Depth=1
	s_mul_u64 s[8:9], s[12:13], s[2:3]
	s_delay_alu instid0(SALU_CYCLE_1)
	s_lshl_b64 s[8:9], s[8:9], 3
	s_wait_kmcnt 0x0
	s_add_nc_u64 s[6:7], s[6:7], s[8:9]
	s_and_saveexec_b32 s1, s0
	s_cbranch_execz .LBB8_2
; %bb.4:                                ;   in Loop: Header=BB8_3 Depth=1
	s_mul_u64 s[8:9], s[4:5], s[2:3]
	v_lshl_add_u64 v[6:7], v[0:1], 3, s[6:7]
	v_lshl_add_u64 v[4:5], s[8:9], 3, v[2:3]
	global_load_b64 v[4:5], v[4:5], off
	s_wait_loadcnt 0x0
	global_store_b64 v[6:7], v[4:5], off
	s_branch .LBB8_2
.LBB8_5:
	s_endpgm
	.section	.rodata,"a",@progbits
	.p2align	6, 0x0
	.amdhsa_kernel _ZL40rocblas_copy_triangular_syrk_herk_kernelILb1ELb1ELb0E19rocblas_complex_numIfEPS1_Li16ELi16EEviT3_ilPT2_i
		.amdhsa_group_segment_fixed_size 0
		.amdhsa_private_segment_fixed_size 0
		.amdhsa_kernarg_size 304
		.amdhsa_user_sgpr_count 2
		.amdhsa_user_sgpr_dispatch_ptr 0
		.amdhsa_user_sgpr_queue_ptr 0
		.amdhsa_user_sgpr_kernarg_segment_ptr 1
		.amdhsa_user_sgpr_dispatch_id 0
		.amdhsa_user_sgpr_kernarg_preload_length 0
		.amdhsa_user_sgpr_kernarg_preload_offset 0
		.amdhsa_user_sgpr_private_segment_size 0
		.amdhsa_wavefront_size32 1
		.amdhsa_uses_dynamic_stack 0
		.amdhsa_enable_private_segment 0
		.amdhsa_system_sgpr_workgroup_id_x 1
		.amdhsa_system_sgpr_workgroup_id_y 1
		.amdhsa_system_sgpr_workgroup_id_z 1
		.amdhsa_system_sgpr_workgroup_info 0
		.amdhsa_system_vgpr_workitem_id 1
		.amdhsa_next_free_vgpr 9
		.amdhsa_next_free_sgpr 21
		.amdhsa_named_barrier_count 0
		.amdhsa_reserve_vcc 1
		.amdhsa_float_round_mode_32 0
		.amdhsa_float_round_mode_16_64 0
		.amdhsa_float_denorm_mode_32 3
		.amdhsa_float_denorm_mode_16_64 3
		.amdhsa_fp16_overflow 0
		.amdhsa_memory_ordered 1
		.amdhsa_forward_progress 1
		.amdhsa_inst_pref_size 4
		.amdhsa_round_robin_scheduling 0
		.amdhsa_exception_fp_ieee_invalid_op 0
		.amdhsa_exception_fp_denorm_src 0
		.amdhsa_exception_fp_ieee_div_zero 0
		.amdhsa_exception_fp_ieee_overflow 0
		.amdhsa_exception_fp_ieee_underflow 0
		.amdhsa_exception_fp_ieee_inexact 0
		.amdhsa_exception_int_div_zero 0
	.end_amdhsa_kernel
	.section	.text._ZL40rocblas_copy_triangular_syrk_herk_kernelILb1ELb1ELb0E19rocblas_complex_numIfEPS1_Li16ELi16EEviT3_ilPT2_i,"axG",@progbits,_ZL40rocblas_copy_triangular_syrk_herk_kernelILb1ELb1ELb0E19rocblas_complex_numIfEPS1_Li16ELi16EEviT3_ilPT2_i,comdat
.Lfunc_end8:
	.size	_ZL40rocblas_copy_triangular_syrk_herk_kernelILb1ELb1ELb0E19rocblas_complex_numIfEPS1_Li16ELi16EEviT3_ilPT2_i, .Lfunc_end8-_ZL40rocblas_copy_triangular_syrk_herk_kernelILb1ELb1ELb0E19rocblas_complex_numIfEPS1_Li16ELi16EEviT3_ilPT2_i
                                        ; -- End function
	.set _ZL40rocblas_copy_triangular_syrk_herk_kernelILb1ELb1ELb0E19rocblas_complex_numIfEPS1_Li16ELi16EEviT3_ilPT2_i.num_vgpr, 9
	.set _ZL40rocblas_copy_triangular_syrk_herk_kernelILb1ELb1ELb0E19rocblas_complex_numIfEPS1_Li16ELi16EEviT3_ilPT2_i.num_agpr, 0
	.set _ZL40rocblas_copy_triangular_syrk_herk_kernelILb1ELb1ELb0E19rocblas_complex_numIfEPS1_Li16ELi16EEviT3_ilPT2_i.numbered_sgpr, 21
	.set _ZL40rocblas_copy_triangular_syrk_herk_kernelILb1ELb1ELb0E19rocblas_complex_numIfEPS1_Li16ELi16EEviT3_ilPT2_i.num_named_barrier, 0
	.set _ZL40rocblas_copy_triangular_syrk_herk_kernelILb1ELb1ELb0E19rocblas_complex_numIfEPS1_Li16ELi16EEviT3_ilPT2_i.private_seg_size, 0
	.set _ZL40rocblas_copy_triangular_syrk_herk_kernelILb1ELb1ELb0E19rocblas_complex_numIfEPS1_Li16ELi16EEviT3_ilPT2_i.uses_vcc, 1
	.set _ZL40rocblas_copy_triangular_syrk_herk_kernelILb1ELb1ELb0E19rocblas_complex_numIfEPS1_Li16ELi16EEviT3_ilPT2_i.uses_flat_scratch, 0
	.set _ZL40rocblas_copy_triangular_syrk_herk_kernelILb1ELb1ELb0E19rocblas_complex_numIfEPS1_Li16ELi16EEviT3_ilPT2_i.has_dyn_sized_stack, 0
	.set _ZL40rocblas_copy_triangular_syrk_herk_kernelILb1ELb1ELb0E19rocblas_complex_numIfEPS1_Li16ELi16EEviT3_ilPT2_i.has_recursion, 0
	.set _ZL40rocblas_copy_triangular_syrk_herk_kernelILb1ELb1ELb0E19rocblas_complex_numIfEPS1_Li16ELi16EEviT3_ilPT2_i.has_indirect_call, 0
	.section	.AMDGPU.csdata,"",@progbits
; Kernel info:
; codeLenInByte = 496
; TotalNumSgprs: 23
; NumVgprs: 9
; ScratchSize: 0
; MemoryBound: 0
; FloatMode: 240
; IeeeMode: 1
; LDSByteSize: 0 bytes/workgroup (compile time only)
; SGPRBlocks: 0
; VGPRBlocks: 0
; NumSGPRsForWavesPerEU: 23
; NumVGPRsForWavesPerEU: 9
; NamedBarCnt: 0
; Occupancy: 16
; WaveLimiterHint : 0
; COMPUTE_PGM_RSRC2:SCRATCH_EN: 0
; COMPUTE_PGM_RSRC2:USER_SGPR: 2
; COMPUTE_PGM_RSRC2:TRAP_HANDLER: 0
; COMPUTE_PGM_RSRC2:TGID_X_EN: 1
; COMPUTE_PGM_RSRC2:TGID_Y_EN: 1
; COMPUTE_PGM_RSRC2:TGID_Z_EN: 1
; COMPUTE_PGM_RSRC2:TIDIG_COMP_CNT: 1
	.section	.text._ZL40rocblas_copy_triangular_syrk_herk_kernelILb1ELb0ELb0E19rocblas_complex_numIfEPS1_Li16ELi16EEviT3_ilPT2_i,"axG",@progbits,_ZL40rocblas_copy_triangular_syrk_herk_kernelILb1ELb0ELb0E19rocblas_complex_numIfEPS1_Li16ELi16EEviT3_ilPT2_i,comdat
	.globl	_ZL40rocblas_copy_triangular_syrk_herk_kernelILb1ELb0ELb0E19rocblas_complex_numIfEPS1_Li16ELi16EEviT3_ilPT2_i ; -- Begin function _ZL40rocblas_copy_triangular_syrk_herk_kernelILb1ELb0ELb0E19rocblas_complex_numIfEPS1_Li16ELi16EEviT3_ilPT2_i
	.p2align	8
	.type	_ZL40rocblas_copy_triangular_syrk_herk_kernelILb1ELb0ELb0E19rocblas_complex_numIfEPS1_Li16ELi16EEviT3_ilPT2_i,@function
_ZL40rocblas_copy_triangular_syrk_herk_kernelILb1ELb0ELb0E19rocblas_complex_numIfEPS1_Li16ELi16EEviT3_ilPT2_i: ; @_ZL40rocblas_copy_triangular_syrk_herk_kernelILb1ELb0ELb0E19rocblas_complex_numIfEPS1_Li16ELi16EEviT3_ilPT2_i
; %bb.0:
	s_load_b32 s11, s[0:1], 0x28
	s_bfe_u32 s2, ttmp6, 0x40014
	s_lshr_b32 s3, ttmp7, 16
	s_add_co_i32 s2, s2, 1
	s_bfe_u32 s5, ttmp6, 0x40008
	s_mul_i32 s2, s3, s2
	s_getreg_b32 s4, hwreg(HW_REG_IB_STS2, 6, 4)
	s_add_co_i32 s5, s5, s2
	s_cmp_eq_u32 s4, 0
	s_cselect_b32 s2, s3, s5
	s_mov_b32 s3, 0
	s_wait_kmcnt 0x0
	s_cmp_ge_u32 s2, s11
	s_cbranch_scc1 .LBB9_5
; %bb.1:
	s_clause 0x2
	s_load_b32 s14, s[0:1], 0x0
	s_load_b96 s[8:10], s[0:1], 0x8
	s_load_b32 s16, s[0:1], 0x3c
	s_bfe_u32 s12, ttmp6, 0x4000c
	s_bfe_u32 s5, ttmp6, 0x40010
	s_add_co_i32 s12, s12, 1
	s_and_b32 s17, ttmp7, 0xffff
	s_mul_i32 s19, ttmp9, s12
	s_add_co_i32 s5, s5, 1
	s_bfe_u32 s6, ttmp6, 0x40004
	s_mul_i32 s5, s17, s5
	s_mov_b32 s7, s3
	s_add_co_i32 s20, s6, s5
	s_and_b32 s18, ttmp6, 15
	v_and_b32_e32 v1, 0x3ff, v0
	s_add_co_i32 s18, s18, s19
	v_bfe_u32 v0, v0, 10, 10
	s_wait_kmcnt 0x0
	s_add_co_i32 s12, s14, -1
	s_ashr_i32 s15, s14, 31
	s_ashr_i32 s13, s12, 31
	;; [unrolled: 1-line block ×3, first 2 shown]
	s_mul_u64 s[12:13], s[12:13], s[14:15]
	s_lshr_b32 s15, s16, 16
	s_lshr_b32 s6, s13, 31
	s_and_b32 s16, s16, 0xffff
	s_add_nc_u64 s[6:7], s[12:13], s[6:7]
	s_delay_alu instid0(SALU_CYCLE_1)
	s_ashr_i64 s[12:13], s[6:7], 1
	s_cmp_eq_u32 s4, 0
	s_cselect_b32 s4, ttmp9, s18
	s_cselect_b32 s6, s17, s20
	v_mad_u32 v2, s4, s16, v1
	v_mad_u32 v4, s6, s15, v0
	s_mov_b32 s4, s10
	s_delay_alu instid0(VALU_DEP_1) | instskip(SKIP_2) | instid1(VALU_DEP_3)
	v_dual_ashrrev_i32 v3, 31, v2 :: v_dual_max_i32 v9, v4, v2
	v_not_b32_e32 v8, v4
	v_cmp_lt_i32_e32 vcc_lo, v4, v2
	v_mul_u64_e32 v[0:1], s[4:5], v[2:3]
	s_load_b128 s[4:7], s[0:1], 0x18
	s_delay_alu instid0(VALU_DEP_3) | instskip(SKIP_2) | instid1(VALU_DEP_2)
	v_lshl_add_u32 v3, s14, 1, v8
	s_wait_xcnt 0x0
	v_cmp_gt_i32_e64 s0, s14, v9
	v_mul_lo_u32 v3, v3, v4
	s_and_b32 s0, vcc_lo, s0
	s_delay_alu instid0(VALU_DEP_1) | instskip(NEXT) | instid1(VALU_DEP_1)
	v_lshrrev_b32_e32 v5, 31, v3
	v_dual_add_nc_u32 v3, v3, v5 :: v_dual_ashrrev_i32 v5, 31, v4
	s_delay_alu instid0(VALU_DEP_1) | instskip(SKIP_1) | instid1(VALU_DEP_2)
	v_ashrrev_i32_e32 v3, 1, v3
	v_lshl_add_u64 v[6:7], v[0:1], 3, s[8:9]
	v_add3_u32 v0, v2, v8, v3
	s_delay_alu instid0(VALU_DEP_2) | instskip(NEXT) | instid1(VALU_DEP_2)
	v_lshl_add_u64 v[2:3], v[4:5], 3, v[6:7]
	v_ashrrev_i32_e32 v1, 31, v0
	s_branch .LBB9_3
.LBB9_2:                                ;   in Loop: Header=BB9_3 Depth=1
	s_wait_xcnt 0x0
	s_or_b32 exec_lo, exec_lo, s1
	s_add_co_i32 s2, s2, 0x10000
	s_delay_alu instid0(SALU_CYCLE_1)
	s_cmp_lt_u32 s2, s11
	s_cbranch_scc0 .LBB9_5
.LBB9_3:                                ; =>This Inner Loop Header: Depth=1
	s_mul_u64 s[8:9], s[12:13], s[2:3]
	s_delay_alu instid0(SALU_CYCLE_1)
	s_lshl_b64 s[8:9], s[8:9], 3
	s_wait_kmcnt 0x0
	s_add_nc_u64 s[6:7], s[6:7], s[8:9]
	s_and_saveexec_b32 s1, s0
	s_cbranch_execz .LBB9_2
; %bb.4:                                ;   in Loop: Header=BB9_3 Depth=1
	s_mul_u64 s[8:9], s[4:5], s[2:3]
	v_lshl_add_u64 v[6:7], v[0:1], 3, s[6:7]
	v_lshl_add_u64 v[4:5], s[8:9], 3, v[2:3]
	global_load_b64 v[4:5], v[4:5], off
	s_wait_loadcnt 0x0
	global_store_b64 v[6:7], v[4:5], off
	s_branch .LBB9_2
.LBB9_5:
	s_endpgm
	.section	.rodata,"a",@progbits
	.p2align	6, 0x0
	.amdhsa_kernel _ZL40rocblas_copy_triangular_syrk_herk_kernelILb1ELb0ELb0E19rocblas_complex_numIfEPS1_Li16ELi16EEviT3_ilPT2_i
		.amdhsa_group_segment_fixed_size 0
		.amdhsa_private_segment_fixed_size 0
		.amdhsa_kernarg_size 304
		.amdhsa_user_sgpr_count 2
		.amdhsa_user_sgpr_dispatch_ptr 0
		.amdhsa_user_sgpr_queue_ptr 0
		.amdhsa_user_sgpr_kernarg_segment_ptr 1
		.amdhsa_user_sgpr_dispatch_id 0
		.amdhsa_user_sgpr_kernarg_preload_length 0
		.amdhsa_user_sgpr_kernarg_preload_offset 0
		.amdhsa_user_sgpr_private_segment_size 0
		.amdhsa_wavefront_size32 1
		.amdhsa_uses_dynamic_stack 0
		.amdhsa_enable_private_segment 0
		.amdhsa_system_sgpr_workgroup_id_x 1
		.amdhsa_system_sgpr_workgroup_id_y 1
		.amdhsa_system_sgpr_workgroup_id_z 1
		.amdhsa_system_sgpr_workgroup_info 0
		.amdhsa_system_vgpr_workitem_id 1
		.amdhsa_next_free_vgpr 10
		.amdhsa_next_free_sgpr 21
		.amdhsa_named_barrier_count 0
		.amdhsa_reserve_vcc 1
		.amdhsa_float_round_mode_32 0
		.amdhsa_float_round_mode_16_64 0
		.amdhsa_float_denorm_mode_32 3
		.amdhsa_float_denorm_mode_16_64 3
		.amdhsa_fp16_overflow 0
		.amdhsa_memory_ordered 1
		.amdhsa_forward_progress 1
		.amdhsa_inst_pref_size 4
		.amdhsa_round_robin_scheduling 0
		.amdhsa_exception_fp_ieee_invalid_op 0
		.amdhsa_exception_fp_denorm_src 0
		.amdhsa_exception_fp_ieee_div_zero 0
		.amdhsa_exception_fp_ieee_overflow 0
		.amdhsa_exception_fp_ieee_underflow 0
		.amdhsa_exception_fp_ieee_inexact 0
		.amdhsa_exception_int_div_zero 0
	.end_amdhsa_kernel
	.section	.text._ZL40rocblas_copy_triangular_syrk_herk_kernelILb1ELb0ELb0E19rocblas_complex_numIfEPS1_Li16ELi16EEviT3_ilPT2_i,"axG",@progbits,_ZL40rocblas_copy_triangular_syrk_herk_kernelILb1ELb0ELb0E19rocblas_complex_numIfEPS1_Li16ELi16EEviT3_ilPT2_i,comdat
.Lfunc_end9:
	.size	_ZL40rocblas_copy_triangular_syrk_herk_kernelILb1ELb0ELb0E19rocblas_complex_numIfEPS1_Li16ELi16EEviT3_ilPT2_i, .Lfunc_end9-_ZL40rocblas_copy_triangular_syrk_herk_kernelILb1ELb0ELb0E19rocblas_complex_numIfEPS1_Li16ELi16EEviT3_ilPT2_i
                                        ; -- End function
	.set _ZL40rocblas_copy_triangular_syrk_herk_kernelILb1ELb0ELb0E19rocblas_complex_numIfEPS1_Li16ELi16EEviT3_ilPT2_i.num_vgpr, 10
	.set _ZL40rocblas_copy_triangular_syrk_herk_kernelILb1ELb0ELb0E19rocblas_complex_numIfEPS1_Li16ELi16EEviT3_ilPT2_i.num_agpr, 0
	.set _ZL40rocblas_copy_triangular_syrk_herk_kernelILb1ELb0ELb0E19rocblas_complex_numIfEPS1_Li16ELi16EEviT3_ilPT2_i.numbered_sgpr, 21
	.set _ZL40rocblas_copy_triangular_syrk_herk_kernelILb1ELb0ELb0E19rocblas_complex_numIfEPS1_Li16ELi16EEviT3_ilPT2_i.num_named_barrier, 0
	.set _ZL40rocblas_copy_triangular_syrk_herk_kernelILb1ELb0ELb0E19rocblas_complex_numIfEPS1_Li16ELi16EEviT3_ilPT2_i.private_seg_size, 0
	.set _ZL40rocblas_copy_triangular_syrk_herk_kernelILb1ELb0ELb0E19rocblas_complex_numIfEPS1_Li16ELi16EEviT3_ilPT2_i.uses_vcc, 1
	.set _ZL40rocblas_copy_triangular_syrk_herk_kernelILb1ELb0ELb0E19rocblas_complex_numIfEPS1_Li16ELi16EEviT3_ilPT2_i.uses_flat_scratch, 0
	.set _ZL40rocblas_copy_triangular_syrk_herk_kernelILb1ELb0ELb0E19rocblas_complex_numIfEPS1_Li16ELi16EEviT3_ilPT2_i.has_dyn_sized_stack, 0
	.set _ZL40rocblas_copy_triangular_syrk_herk_kernelILb1ELb0ELb0E19rocblas_complex_numIfEPS1_Li16ELi16EEviT3_ilPT2_i.has_recursion, 0
	.set _ZL40rocblas_copy_triangular_syrk_herk_kernelILb1ELb0ELb0E19rocblas_complex_numIfEPS1_Li16ELi16EEviT3_ilPT2_i.has_indirect_call, 0
	.section	.AMDGPU.csdata,"",@progbits
; Kernel info:
; codeLenInByte = 508
; TotalNumSgprs: 23
; NumVgprs: 10
; ScratchSize: 0
; MemoryBound: 0
; FloatMode: 240
; IeeeMode: 1
; LDSByteSize: 0 bytes/workgroup (compile time only)
; SGPRBlocks: 0
; VGPRBlocks: 0
; NumSGPRsForWavesPerEU: 23
; NumVGPRsForWavesPerEU: 10
; NamedBarCnt: 0
; Occupancy: 16
; WaveLimiterHint : 0
; COMPUTE_PGM_RSRC2:SCRATCH_EN: 0
; COMPUTE_PGM_RSRC2:USER_SGPR: 2
; COMPUTE_PGM_RSRC2:TRAP_HANDLER: 0
; COMPUTE_PGM_RSRC2:TGID_X_EN: 1
; COMPUTE_PGM_RSRC2:TGID_Y_EN: 1
; COMPUTE_PGM_RSRC2:TGID_Z_EN: 1
; COMPUTE_PGM_RSRC2:TIDIG_COMP_CNT: 1
	.section	.text._ZL40rocblas_copy_triangular_syrk_herk_kernelILb0ELb1ELb0E19rocblas_complex_numIfEPS1_Li16ELi16EEviT3_ilPT2_i,"axG",@progbits,_ZL40rocblas_copy_triangular_syrk_herk_kernelILb0ELb1ELb0E19rocblas_complex_numIfEPS1_Li16ELi16EEviT3_ilPT2_i,comdat
	.globl	_ZL40rocblas_copy_triangular_syrk_herk_kernelILb0ELb1ELb0E19rocblas_complex_numIfEPS1_Li16ELi16EEviT3_ilPT2_i ; -- Begin function _ZL40rocblas_copy_triangular_syrk_herk_kernelILb0ELb1ELb0E19rocblas_complex_numIfEPS1_Li16ELi16EEviT3_ilPT2_i
	.p2align	8
	.type	_ZL40rocblas_copy_triangular_syrk_herk_kernelILb0ELb1ELb0E19rocblas_complex_numIfEPS1_Li16ELi16EEviT3_ilPT2_i,@function
_ZL40rocblas_copy_triangular_syrk_herk_kernelILb0ELb1ELb0E19rocblas_complex_numIfEPS1_Li16ELi16EEviT3_ilPT2_i: ; @_ZL40rocblas_copy_triangular_syrk_herk_kernelILb0ELb1ELb0E19rocblas_complex_numIfEPS1_Li16ELi16EEviT3_ilPT2_i
; %bb.0:
	s_load_b32 s11, s[0:1], 0x28
	s_bfe_u32 s2, ttmp6, 0x40014
	s_lshr_b32 s3, ttmp7, 16
	s_add_co_i32 s2, s2, 1
	s_bfe_u32 s5, ttmp6, 0x40008
	s_mul_i32 s2, s3, s2
	s_getreg_b32 s4, hwreg(HW_REG_IB_STS2, 6, 4)
	s_add_co_i32 s5, s5, s2
	s_cmp_eq_u32 s4, 0
	s_cselect_b32 s2, s3, s5
	s_mov_b32 s3, 0
	s_wait_kmcnt 0x0
	s_cmp_ge_u32 s2, s11
	s_cbranch_scc1 .LBB10_5
; %bb.1:
	s_clause 0x2
	s_load_b32 s14, s[0:1], 0x0
	s_load_b96 s[8:10], s[0:1], 0x8
	s_load_b32 s16, s[0:1], 0x3c
	s_bfe_u32 s12, ttmp6, 0x4000c
	s_bfe_u32 s5, ttmp6, 0x40010
	s_add_co_i32 s12, s12, 1
	s_and_b32 s17, ttmp7, 0xffff
	s_mul_i32 s19, ttmp9, s12
	s_add_co_i32 s5, s5, 1
	s_bfe_u32 s6, ttmp6, 0x40004
	s_mul_i32 s5, s17, s5
	s_mov_b32 s7, s3
	s_add_co_i32 s20, s6, s5
	s_and_b32 s18, ttmp6, 15
	v_and_b32_e32 v1, 0x3ff, v0
	s_add_co_i32 s18, s18, s19
	v_bfe_u32 v0, v0, 10, 10
	s_wait_kmcnt 0x0
	s_add_co_i32 s12, s14, -1
	s_ashr_i32 s15, s14, 31
	s_ashr_i32 s13, s12, 31
	;; [unrolled: 1-line block ×3, first 2 shown]
	s_mul_u64 s[12:13], s[12:13], s[14:15]
	s_lshr_b32 s15, s16, 16
	s_lshr_b32 s6, s13, 31
	s_and_b32 s16, s16, 0xffff
	s_add_nc_u64 s[6:7], s[12:13], s[6:7]
	s_delay_alu instid0(SALU_CYCLE_1) | instskip(SKIP_2) | instid1(SALU_CYCLE_1)
	s_ashr_i64 s[12:13], s[6:7], 1
	s_cmp_eq_u32 s4, 0
	s_cselect_b32 s4, ttmp9, s18
	v_mad_u32 v2, s4, s16, v1
	s_cselect_b32 s4, s17, s20
	s_delay_alu instid0(SALU_CYCLE_1) | instskip(SKIP_1) | instid1(VALU_DEP_1)
	v_mad_u32 v4, s4, s15, v0
	s_mov_b32 s4, s10
	v_dual_ashrrev_i32 v3, 31, v2 :: v_dual_add_nc_u32 v0, -1, v4
	v_ashrrev_i32_e32 v5, 31, v4
	s_delay_alu instid0(VALU_DEP_2) | instskip(SKIP_4) | instid1(VALU_DEP_1)
	v_mul_u64_e32 v[6:7], s[4:5], v[2:3]
	s_load_b128 s[4:7], s[0:1], 0x18
	s_wait_xcnt 0x0
	v_cmp_gt_i32_e64 s0, v4, v2
	v_mul_lo_u32 v0, v0, v4
	v_lshrrev_b32_e32 v1, 31, v0
	s_delay_alu instid0(VALU_DEP_1) | instskip(NEXT) | instid1(VALU_DEP_1)
	v_add_nc_u32_e32 v0, v0, v1
	v_dual_ashrrev_i32 v0, 1, v0 :: v_dual_max_i32 v1, v4, v2
	s_delay_alu instid0(VALU_DEP_1) | instskip(NEXT) | instid1(VALU_DEP_2)
	v_cmp_gt_i32_e32 vcc_lo, s14, v1
	v_add_nc_u32_e32 v0, v0, v2
	s_and_b32 s0, s0, vcc_lo
	v_lshl_add_u64 v[6:7], v[6:7], 3, s[8:9]
	s_delay_alu instid0(VALU_DEP_2) | instskip(NEXT) | instid1(VALU_DEP_2)
	v_ashrrev_i32_e32 v1, 31, v0
	v_lshl_add_u64 v[2:3], v[4:5], 3, v[6:7]
	s_branch .LBB10_3
.LBB10_2:                               ;   in Loop: Header=BB10_3 Depth=1
	s_wait_xcnt 0x0
	s_or_b32 exec_lo, exec_lo, s1
	s_add_co_i32 s2, s2, 0x10000
	s_delay_alu instid0(SALU_CYCLE_1)
	s_cmp_lt_u32 s2, s11
	s_cbranch_scc0 .LBB10_5
.LBB10_3:                               ; =>This Inner Loop Header: Depth=1
	s_mul_u64 s[8:9], s[12:13], s[2:3]
	s_delay_alu instid0(SALU_CYCLE_1)
	s_lshl_b64 s[8:9], s[8:9], 3
	s_wait_kmcnt 0x0
	s_add_nc_u64 s[6:7], s[6:7], s[8:9]
	s_and_saveexec_b32 s1, s0
	s_cbranch_execz .LBB10_2
; %bb.4:                                ;   in Loop: Header=BB10_3 Depth=1
	v_lshl_add_u64 v[4:5], v[0:1], 3, s[6:7]
	s_mul_u64 s[8:9], s[4:5], s[2:3]
	s_delay_alu instid0(SALU_CYCLE_1)
	v_lshl_add_u64 v[6:7], s[8:9], 3, v[2:3]
	global_load_b64 v[4:5], v[4:5], off
	s_wait_loadcnt 0x0
	global_store_b64 v[6:7], v[4:5], off
	s_branch .LBB10_2
.LBB10_5:
	s_endpgm
	.section	.rodata,"a",@progbits
	.p2align	6, 0x0
	.amdhsa_kernel _ZL40rocblas_copy_triangular_syrk_herk_kernelILb0ELb1ELb0E19rocblas_complex_numIfEPS1_Li16ELi16EEviT3_ilPT2_i
		.amdhsa_group_segment_fixed_size 0
		.amdhsa_private_segment_fixed_size 0
		.amdhsa_kernarg_size 304
		.amdhsa_user_sgpr_count 2
		.amdhsa_user_sgpr_dispatch_ptr 0
		.amdhsa_user_sgpr_queue_ptr 0
		.amdhsa_user_sgpr_kernarg_segment_ptr 1
		.amdhsa_user_sgpr_dispatch_id 0
		.amdhsa_user_sgpr_kernarg_preload_length 0
		.amdhsa_user_sgpr_kernarg_preload_offset 0
		.amdhsa_user_sgpr_private_segment_size 0
		.amdhsa_wavefront_size32 1
		.amdhsa_uses_dynamic_stack 0
		.amdhsa_enable_private_segment 0
		.amdhsa_system_sgpr_workgroup_id_x 1
		.amdhsa_system_sgpr_workgroup_id_y 1
		.amdhsa_system_sgpr_workgroup_id_z 1
		.amdhsa_system_sgpr_workgroup_info 0
		.amdhsa_system_vgpr_workitem_id 1
		.amdhsa_next_free_vgpr 8
		.amdhsa_next_free_sgpr 21
		.amdhsa_named_barrier_count 0
		.amdhsa_reserve_vcc 1
		.amdhsa_float_round_mode_32 0
		.amdhsa_float_round_mode_16_64 0
		.amdhsa_float_denorm_mode_32 3
		.amdhsa_float_denorm_mode_16_64 3
		.amdhsa_fp16_overflow 0
		.amdhsa_memory_ordered 1
		.amdhsa_forward_progress 1
		.amdhsa_inst_pref_size 4
		.amdhsa_round_robin_scheduling 0
		.amdhsa_exception_fp_ieee_invalid_op 0
		.amdhsa_exception_fp_denorm_src 0
		.amdhsa_exception_fp_ieee_div_zero 0
		.amdhsa_exception_fp_ieee_overflow 0
		.amdhsa_exception_fp_ieee_underflow 0
		.amdhsa_exception_fp_ieee_inexact 0
		.amdhsa_exception_int_div_zero 0
	.end_amdhsa_kernel
	.section	.text._ZL40rocblas_copy_triangular_syrk_herk_kernelILb0ELb1ELb0E19rocblas_complex_numIfEPS1_Li16ELi16EEviT3_ilPT2_i,"axG",@progbits,_ZL40rocblas_copy_triangular_syrk_herk_kernelILb0ELb1ELb0E19rocblas_complex_numIfEPS1_Li16ELi16EEviT3_ilPT2_i,comdat
.Lfunc_end10:
	.size	_ZL40rocblas_copy_triangular_syrk_herk_kernelILb0ELb1ELb0E19rocblas_complex_numIfEPS1_Li16ELi16EEviT3_ilPT2_i, .Lfunc_end10-_ZL40rocblas_copy_triangular_syrk_herk_kernelILb0ELb1ELb0E19rocblas_complex_numIfEPS1_Li16ELi16EEviT3_ilPT2_i
                                        ; -- End function
	.set _ZL40rocblas_copy_triangular_syrk_herk_kernelILb0ELb1ELb0E19rocblas_complex_numIfEPS1_Li16ELi16EEviT3_ilPT2_i.num_vgpr, 8
	.set _ZL40rocblas_copy_triangular_syrk_herk_kernelILb0ELb1ELb0E19rocblas_complex_numIfEPS1_Li16ELi16EEviT3_ilPT2_i.num_agpr, 0
	.set _ZL40rocblas_copy_triangular_syrk_herk_kernelILb0ELb1ELb0E19rocblas_complex_numIfEPS1_Li16ELi16EEviT3_ilPT2_i.numbered_sgpr, 21
	.set _ZL40rocblas_copy_triangular_syrk_herk_kernelILb0ELb1ELb0E19rocblas_complex_numIfEPS1_Li16ELi16EEviT3_ilPT2_i.num_named_barrier, 0
	.set _ZL40rocblas_copy_triangular_syrk_herk_kernelILb0ELb1ELb0E19rocblas_complex_numIfEPS1_Li16ELi16EEviT3_ilPT2_i.private_seg_size, 0
	.set _ZL40rocblas_copy_triangular_syrk_herk_kernelILb0ELb1ELb0E19rocblas_complex_numIfEPS1_Li16ELi16EEviT3_ilPT2_i.uses_vcc, 1
	.set _ZL40rocblas_copy_triangular_syrk_herk_kernelILb0ELb1ELb0E19rocblas_complex_numIfEPS1_Li16ELi16EEviT3_ilPT2_i.uses_flat_scratch, 0
	.set _ZL40rocblas_copy_triangular_syrk_herk_kernelILb0ELb1ELb0E19rocblas_complex_numIfEPS1_Li16ELi16EEviT3_ilPT2_i.has_dyn_sized_stack, 0
	.set _ZL40rocblas_copy_triangular_syrk_herk_kernelILb0ELb1ELb0E19rocblas_complex_numIfEPS1_Li16ELi16EEviT3_ilPT2_i.has_recursion, 0
	.set _ZL40rocblas_copy_triangular_syrk_herk_kernelILb0ELb1ELb0E19rocblas_complex_numIfEPS1_Li16ELi16EEviT3_ilPT2_i.has_indirect_call, 0
	.section	.AMDGPU.csdata,"",@progbits
; Kernel info:
; codeLenInByte = 500
; TotalNumSgprs: 23
; NumVgprs: 8
; ScratchSize: 0
; MemoryBound: 0
; FloatMode: 240
; IeeeMode: 1
; LDSByteSize: 0 bytes/workgroup (compile time only)
; SGPRBlocks: 0
; VGPRBlocks: 0
; NumSGPRsForWavesPerEU: 23
; NumVGPRsForWavesPerEU: 8
; NamedBarCnt: 0
; Occupancy: 16
; WaveLimiterHint : 0
; COMPUTE_PGM_RSRC2:SCRATCH_EN: 0
; COMPUTE_PGM_RSRC2:USER_SGPR: 2
; COMPUTE_PGM_RSRC2:TRAP_HANDLER: 0
; COMPUTE_PGM_RSRC2:TGID_X_EN: 1
; COMPUTE_PGM_RSRC2:TGID_Y_EN: 1
; COMPUTE_PGM_RSRC2:TGID_Z_EN: 1
; COMPUTE_PGM_RSRC2:TIDIG_COMP_CNT: 1
	.section	.text._ZL40rocblas_copy_triangular_syrk_herk_kernelILb0ELb0ELb0E19rocblas_complex_numIfEPS1_Li16ELi16EEviT3_ilPT2_i,"axG",@progbits,_ZL40rocblas_copy_triangular_syrk_herk_kernelILb0ELb0ELb0E19rocblas_complex_numIfEPS1_Li16ELi16EEviT3_ilPT2_i,comdat
	.globl	_ZL40rocblas_copy_triangular_syrk_herk_kernelILb0ELb0ELb0E19rocblas_complex_numIfEPS1_Li16ELi16EEviT3_ilPT2_i ; -- Begin function _ZL40rocblas_copy_triangular_syrk_herk_kernelILb0ELb0ELb0E19rocblas_complex_numIfEPS1_Li16ELi16EEviT3_ilPT2_i
	.p2align	8
	.type	_ZL40rocblas_copy_triangular_syrk_herk_kernelILb0ELb0ELb0E19rocblas_complex_numIfEPS1_Li16ELi16EEviT3_ilPT2_i,@function
_ZL40rocblas_copy_triangular_syrk_herk_kernelILb0ELb0ELb0E19rocblas_complex_numIfEPS1_Li16ELi16EEviT3_ilPT2_i: ; @_ZL40rocblas_copy_triangular_syrk_herk_kernelILb0ELb0ELb0E19rocblas_complex_numIfEPS1_Li16ELi16EEviT3_ilPT2_i
; %bb.0:
	s_load_b32 s11, s[0:1], 0x28
	s_bfe_u32 s2, ttmp6, 0x40014
	s_lshr_b32 s3, ttmp7, 16
	s_add_co_i32 s2, s2, 1
	s_bfe_u32 s5, ttmp6, 0x40008
	s_mul_i32 s2, s3, s2
	s_getreg_b32 s4, hwreg(HW_REG_IB_STS2, 6, 4)
	s_add_co_i32 s5, s5, s2
	s_cmp_eq_u32 s4, 0
	s_cselect_b32 s2, s3, s5
	s_mov_b32 s3, 0
	s_wait_kmcnt 0x0
	s_cmp_ge_u32 s2, s11
	s_cbranch_scc1 .LBB11_5
; %bb.1:
	s_clause 0x2
	s_load_b32 s14, s[0:1], 0x0
	s_load_b96 s[8:10], s[0:1], 0x8
	s_load_b32 s16, s[0:1], 0x3c
	s_bfe_u32 s12, ttmp6, 0x4000c
	s_bfe_u32 s5, ttmp6, 0x40010
	s_add_co_i32 s12, s12, 1
	s_and_b32 s17, ttmp7, 0xffff
	s_mul_i32 s19, ttmp9, s12
	s_add_co_i32 s5, s5, 1
	s_bfe_u32 s6, ttmp6, 0x40004
	s_mul_i32 s5, s17, s5
	s_mov_b32 s7, s3
	s_add_co_i32 s20, s6, s5
	s_and_b32 s18, ttmp6, 15
	v_and_b32_e32 v1, 0x3ff, v0
	v_bfe_u32 v0, v0, 10, 10
	s_add_co_i32 s18, s18, s19
	s_wait_kmcnt 0x0
	s_add_co_i32 s12, s14, -1
	s_ashr_i32 s15, s14, 31
	s_ashr_i32 s13, s12, 31
	;; [unrolled: 1-line block ×3, first 2 shown]
	s_mul_u64 s[12:13], s[12:13], s[14:15]
	s_lshr_b32 s15, s16, 16
	s_lshr_b32 s6, s13, 31
	s_and_b32 s16, s16, 0xffff
	s_add_nc_u64 s[6:7], s[12:13], s[6:7]
	s_delay_alu instid0(SALU_CYCLE_1)
	s_ashr_i64 s[12:13], s[6:7], 1
	s_cmp_eq_u32 s4, 0
	s_cselect_b32 s4, s17, s20
	s_cselect_b32 s6, ttmp9, s18
	v_mad_u32 v2, s4, s15, v0
	v_mad_u32 v4, s6, s16, v1
	s_mov_b32 s4, s10
	s_delay_alu instid0(VALU_DEP_2) | instskip(NEXT) | instid1(VALU_DEP_1)
	v_not_b32_e32 v0, v2
	v_lshl_add_u32 v1, s14, 1, v0
	s_delay_alu instid0(VALU_DEP_1) | instskip(NEXT) | instid1(VALU_DEP_1)
	v_mul_lo_u32 v1, v1, v2
	v_dual_ashrrev_i32 v5, 31, v4 :: v_dual_lshrrev_b32 v3, 31, v1
	s_delay_alu instid0(VALU_DEP_1)
	v_mul_u64_e32 v[6:7], s[4:5], v[4:5]
	s_load_b128 s[4:7], s[0:1], 0x18
	s_wait_xcnt 0x0
	v_cmp_lt_i32_e64 s0, v2, v4
	v_dual_add_nc_u32 v1, v1, v3 :: v_dual_max_i32 v5, v2, v4
	v_ashrrev_i32_e32 v3, 31, v2
	s_delay_alu instid0(VALU_DEP_2) | instskip(NEXT) | instid1(VALU_DEP_3)
	v_cmp_gt_i32_e32 vcc_lo, s14, v5
	v_ashrrev_i32_e32 v1, 1, v1
	s_and_b32 s0, s0, vcc_lo
	s_delay_alu instid0(VALU_DEP_1) | instskip(NEXT) | instid1(VALU_DEP_1)
	v_add3_u32 v0, v4, v0, v1
	v_ashrrev_i32_e32 v1, 31, v0
	v_lshl_add_u64 v[6:7], v[6:7], 3, s[8:9]
	s_delay_alu instid0(VALU_DEP_1)
	v_lshl_add_u64 v[2:3], v[2:3], 3, v[6:7]
	s_branch .LBB11_3
.LBB11_2:                               ;   in Loop: Header=BB11_3 Depth=1
	s_wait_xcnt 0x0
	s_or_b32 exec_lo, exec_lo, s1
	s_add_co_i32 s2, s2, 0x10000
	s_delay_alu instid0(SALU_CYCLE_1)
	s_cmp_lt_u32 s2, s11
	s_cbranch_scc0 .LBB11_5
.LBB11_3:                               ; =>This Inner Loop Header: Depth=1
	s_mul_u64 s[8:9], s[12:13], s[2:3]
	s_delay_alu instid0(SALU_CYCLE_1)
	s_lshl_b64 s[8:9], s[8:9], 3
	s_wait_kmcnt 0x0
	s_add_nc_u64 s[6:7], s[6:7], s[8:9]
	s_and_saveexec_b32 s1, s0
	s_cbranch_execz .LBB11_2
; %bb.4:                                ;   in Loop: Header=BB11_3 Depth=1
	v_lshl_add_u64 v[4:5], v[0:1], 3, s[6:7]
	s_mul_u64 s[8:9], s[4:5], s[2:3]
	s_delay_alu instid0(SALU_CYCLE_1)
	v_lshl_add_u64 v[6:7], s[8:9], 3, v[2:3]
	global_load_b64 v[4:5], v[4:5], off
	s_wait_loadcnt 0x0
	global_store_b64 v[6:7], v[4:5], off
	s_branch .LBB11_2
.LBB11_5:
	s_endpgm
	.section	.rodata,"a",@progbits
	.p2align	6, 0x0
	.amdhsa_kernel _ZL40rocblas_copy_triangular_syrk_herk_kernelILb0ELb0ELb0E19rocblas_complex_numIfEPS1_Li16ELi16EEviT3_ilPT2_i
		.amdhsa_group_segment_fixed_size 0
		.amdhsa_private_segment_fixed_size 0
		.amdhsa_kernarg_size 304
		.amdhsa_user_sgpr_count 2
		.amdhsa_user_sgpr_dispatch_ptr 0
		.amdhsa_user_sgpr_queue_ptr 0
		.amdhsa_user_sgpr_kernarg_segment_ptr 1
		.amdhsa_user_sgpr_dispatch_id 0
		.amdhsa_user_sgpr_kernarg_preload_length 0
		.amdhsa_user_sgpr_kernarg_preload_offset 0
		.amdhsa_user_sgpr_private_segment_size 0
		.amdhsa_wavefront_size32 1
		.amdhsa_uses_dynamic_stack 0
		.amdhsa_enable_private_segment 0
		.amdhsa_system_sgpr_workgroup_id_x 1
		.amdhsa_system_sgpr_workgroup_id_y 1
		.amdhsa_system_sgpr_workgroup_id_z 1
		.amdhsa_system_sgpr_workgroup_info 0
		.amdhsa_system_vgpr_workitem_id 1
		.amdhsa_next_free_vgpr 8
		.amdhsa_next_free_sgpr 21
		.amdhsa_named_barrier_count 0
		.amdhsa_reserve_vcc 1
		.amdhsa_float_round_mode_32 0
		.amdhsa_float_round_mode_16_64 0
		.amdhsa_float_denorm_mode_32 3
		.amdhsa_float_denorm_mode_16_64 3
		.amdhsa_fp16_overflow 0
		.amdhsa_memory_ordered 1
		.amdhsa_forward_progress 1
		.amdhsa_inst_pref_size 5
		.amdhsa_round_robin_scheduling 0
		.amdhsa_exception_fp_ieee_invalid_op 0
		.amdhsa_exception_fp_denorm_src 0
		.amdhsa_exception_fp_ieee_div_zero 0
		.amdhsa_exception_fp_ieee_overflow 0
		.amdhsa_exception_fp_ieee_underflow 0
		.amdhsa_exception_fp_ieee_inexact 0
		.amdhsa_exception_int_div_zero 0
	.end_amdhsa_kernel
	.section	.text._ZL40rocblas_copy_triangular_syrk_herk_kernelILb0ELb0ELb0E19rocblas_complex_numIfEPS1_Li16ELi16EEviT3_ilPT2_i,"axG",@progbits,_ZL40rocblas_copy_triangular_syrk_herk_kernelILb0ELb0ELb0E19rocblas_complex_numIfEPS1_Li16ELi16EEviT3_ilPT2_i,comdat
.Lfunc_end11:
	.size	_ZL40rocblas_copy_triangular_syrk_herk_kernelILb0ELb0ELb0E19rocblas_complex_numIfEPS1_Li16ELi16EEviT3_ilPT2_i, .Lfunc_end11-_ZL40rocblas_copy_triangular_syrk_herk_kernelILb0ELb0ELb0E19rocblas_complex_numIfEPS1_Li16ELi16EEviT3_ilPT2_i
                                        ; -- End function
	.set _ZL40rocblas_copy_triangular_syrk_herk_kernelILb0ELb0ELb0E19rocblas_complex_numIfEPS1_Li16ELi16EEviT3_ilPT2_i.num_vgpr, 8
	.set _ZL40rocblas_copy_triangular_syrk_herk_kernelILb0ELb0ELb0E19rocblas_complex_numIfEPS1_Li16ELi16EEviT3_ilPT2_i.num_agpr, 0
	.set _ZL40rocblas_copy_triangular_syrk_herk_kernelILb0ELb0ELb0E19rocblas_complex_numIfEPS1_Li16ELi16EEviT3_ilPT2_i.numbered_sgpr, 21
	.set _ZL40rocblas_copy_triangular_syrk_herk_kernelILb0ELb0ELb0E19rocblas_complex_numIfEPS1_Li16ELi16EEviT3_ilPT2_i.num_named_barrier, 0
	.set _ZL40rocblas_copy_triangular_syrk_herk_kernelILb0ELb0ELb0E19rocblas_complex_numIfEPS1_Li16ELi16EEviT3_ilPT2_i.private_seg_size, 0
	.set _ZL40rocblas_copy_triangular_syrk_herk_kernelILb0ELb0ELb0E19rocblas_complex_numIfEPS1_Li16ELi16EEviT3_ilPT2_i.uses_vcc, 1
	.set _ZL40rocblas_copy_triangular_syrk_herk_kernelILb0ELb0ELb0E19rocblas_complex_numIfEPS1_Li16ELi16EEviT3_ilPT2_i.uses_flat_scratch, 0
	.set _ZL40rocblas_copy_triangular_syrk_herk_kernelILb0ELb0ELb0E19rocblas_complex_numIfEPS1_Li16ELi16EEviT3_ilPT2_i.has_dyn_sized_stack, 0
	.set _ZL40rocblas_copy_triangular_syrk_herk_kernelILb0ELb0ELb0E19rocblas_complex_numIfEPS1_Li16ELi16EEviT3_ilPT2_i.has_recursion, 0
	.set _ZL40rocblas_copy_triangular_syrk_herk_kernelILb0ELb0ELb0E19rocblas_complex_numIfEPS1_Li16ELi16EEviT3_ilPT2_i.has_indirect_call, 0
	.section	.AMDGPU.csdata,"",@progbits
; Kernel info:
; codeLenInByte = 516
; TotalNumSgprs: 23
; NumVgprs: 8
; ScratchSize: 0
; MemoryBound: 0
; FloatMode: 240
; IeeeMode: 1
; LDSByteSize: 0 bytes/workgroup (compile time only)
; SGPRBlocks: 0
; VGPRBlocks: 0
; NumSGPRsForWavesPerEU: 23
; NumVGPRsForWavesPerEU: 8
; NamedBarCnt: 0
; Occupancy: 16
; WaveLimiterHint : 0
; COMPUTE_PGM_RSRC2:SCRATCH_EN: 0
; COMPUTE_PGM_RSRC2:USER_SGPR: 2
; COMPUTE_PGM_RSRC2:TRAP_HANDLER: 0
; COMPUTE_PGM_RSRC2:TGID_X_EN: 1
; COMPUTE_PGM_RSRC2:TGID_Y_EN: 1
; COMPUTE_PGM_RSRC2:TGID_Z_EN: 1
; COMPUTE_PGM_RSRC2:TIDIG_COMP_CNT: 1
	.section	.text._ZL40rocblas_copy_triangular_syrk_herk_kernelILb1ELb1ELb0E19rocblas_complex_numIdEPS1_Li16ELi16EEviT3_ilPT2_i,"axG",@progbits,_ZL40rocblas_copy_triangular_syrk_herk_kernelILb1ELb1ELb0E19rocblas_complex_numIdEPS1_Li16ELi16EEviT3_ilPT2_i,comdat
	.globl	_ZL40rocblas_copy_triangular_syrk_herk_kernelILb1ELb1ELb0E19rocblas_complex_numIdEPS1_Li16ELi16EEviT3_ilPT2_i ; -- Begin function _ZL40rocblas_copy_triangular_syrk_herk_kernelILb1ELb1ELb0E19rocblas_complex_numIdEPS1_Li16ELi16EEviT3_ilPT2_i
	.p2align	8
	.type	_ZL40rocblas_copy_triangular_syrk_herk_kernelILb1ELb1ELb0E19rocblas_complex_numIdEPS1_Li16ELi16EEviT3_ilPT2_i,@function
_ZL40rocblas_copy_triangular_syrk_herk_kernelILb1ELb1ELb0E19rocblas_complex_numIdEPS1_Li16ELi16EEviT3_ilPT2_i: ; @_ZL40rocblas_copy_triangular_syrk_herk_kernelILb1ELb1ELb0E19rocblas_complex_numIdEPS1_Li16ELi16EEviT3_ilPT2_i
; %bb.0:
	s_load_b32 s11, s[0:1], 0x28
	s_bfe_u32 s2, ttmp6, 0x40014
	s_lshr_b32 s3, ttmp7, 16
	s_add_co_i32 s2, s2, 1
	s_bfe_u32 s5, ttmp6, 0x40008
	s_mul_i32 s2, s3, s2
	s_getreg_b32 s4, hwreg(HW_REG_IB_STS2, 6, 4)
	s_add_co_i32 s5, s5, s2
	s_cmp_eq_u32 s4, 0
	s_cselect_b32 s2, s3, s5
	s_mov_b32 s3, 0
	s_wait_kmcnt 0x0
	s_cmp_ge_u32 s2, s11
	s_cbranch_scc1 .LBB12_5
; %bb.1:
	s_clause 0x2
	s_load_b32 s14, s[0:1], 0x0
	s_load_b96 s[8:10], s[0:1], 0x8
	s_load_b32 s16, s[0:1], 0x3c
	s_bfe_u32 s12, ttmp6, 0x4000c
	s_bfe_u32 s5, ttmp6, 0x40010
	s_add_co_i32 s12, s12, 1
	s_and_b32 s17, ttmp7, 0xffff
	s_mul_i32 s19, ttmp9, s12
	s_add_co_i32 s5, s5, 1
	s_bfe_u32 s6, ttmp6, 0x40004
	s_mul_i32 s5, s17, s5
	s_mov_b32 s7, s3
	s_add_co_i32 s20, s6, s5
	s_and_b32 s18, ttmp6, 15
	v_and_b32_e32 v1, 0x3ff, v0
	s_add_co_i32 s18, s18, s19
	v_bfe_u32 v0, v0, 10, 10
	s_wait_kmcnt 0x0
	s_add_co_i32 s12, s14, -1
	s_ashr_i32 s15, s14, 31
	s_ashr_i32 s13, s12, 31
	;; [unrolled: 1-line block ×3, first 2 shown]
	s_mul_u64 s[12:13], s[12:13], s[14:15]
	s_lshr_b32 s15, s16, 16
	s_lshr_b32 s6, s13, 31
	s_and_b32 s16, s16, 0xffff
	s_add_nc_u64 s[6:7], s[12:13], s[6:7]
	s_delay_alu instid0(SALU_CYCLE_1) | instskip(SKIP_2) | instid1(SALU_CYCLE_1)
	s_ashr_i64 s[12:13], s[6:7], 1
	s_cmp_eq_u32 s4, 0
	s_cselect_b32 s4, ttmp9, s18
	v_mad_u32 v2, s4, s16, v1
	s_cselect_b32 s4, s17, s20
	s_delay_alu instid0(SALU_CYCLE_1) | instskip(SKIP_1) | instid1(VALU_DEP_1)
	v_mad_u32 v4, s4, s15, v0
	s_mov_b32 s4, s10
	v_dual_ashrrev_i32 v3, 31, v2 :: v_dual_max_i32 v8, v4, v2
	v_cmp_gt_i32_e32 vcc_lo, v4, v2
	s_delay_alu instid0(VALU_DEP_2) | instskip(SKIP_4) | instid1(VALU_DEP_2)
	v_mul_u64_e32 v[0:1], s[4:5], v[2:3]
	v_add_nc_u32_e32 v3, -1, v4
	s_load_b128 s[4:7], s[0:1], 0x18
	s_wait_xcnt 0x0
	v_cmp_gt_i32_e64 s0, s14, v8
	v_mul_lo_u32 v3, v3, v4
	s_and_b32 s0, vcc_lo, s0
	s_delay_alu instid0(VALU_DEP_1) | instskip(NEXT) | instid1(VALU_DEP_1)
	v_lshrrev_b32_e32 v5, 31, v3
	v_dual_add_nc_u32 v3, v3, v5 :: v_dual_ashrrev_i32 v5, 31, v4
	s_delay_alu instid0(VALU_DEP_1) | instskip(SKIP_1) | instid1(VALU_DEP_2)
	v_ashrrev_i32_e32 v3, 1, v3
	v_lshl_add_u64 v[6:7], v[0:1], 4, s[8:9]
	v_add_nc_u32_e32 v0, v3, v2
	s_delay_alu instid0(VALU_DEP_2) | instskip(NEXT) | instid1(VALU_DEP_2)
	v_lshl_add_u64 v[2:3], v[4:5], 4, v[6:7]
	v_ashrrev_i32_e32 v1, 31, v0
	s_branch .LBB12_3
.LBB12_2:                               ;   in Loop: Header=BB12_3 Depth=1
	s_wait_xcnt 0x0
	s_or_b32 exec_lo, exec_lo, s1
	s_add_co_i32 s2, s2, 0x10000
	s_delay_alu instid0(SALU_CYCLE_1)
	s_cmp_lt_u32 s2, s11
	s_cbranch_scc0 .LBB12_5
.LBB12_3:                               ; =>This Inner Loop Header: Depth=1
	s_mul_u64 s[8:9], s[12:13], s[2:3]
	s_delay_alu instid0(SALU_CYCLE_1)
	s_lshl_b64 s[8:9], s[8:9], 4
	s_wait_kmcnt 0x0
	s_add_nc_u64 s[6:7], s[6:7], s[8:9]
	s_and_saveexec_b32 s1, s0
	s_cbranch_execz .LBB12_2
; %bb.4:                                ;   in Loop: Header=BB12_3 Depth=1
	s_mul_u64 s[8:9], s[4:5], s[2:3]
	v_lshl_add_u64 v[8:9], v[0:1], 4, s[6:7]
	v_lshl_add_u64 v[4:5], s[8:9], 4, v[2:3]
	global_load_b128 v[4:7], v[4:5], off
	s_wait_loadcnt 0x0
	global_store_b128 v[8:9], v[4:7], off
	s_branch .LBB12_2
.LBB12_5:
	s_endpgm
	.section	.rodata,"a",@progbits
	.p2align	6, 0x0
	.amdhsa_kernel _ZL40rocblas_copy_triangular_syrk_herk_kernelILb1ELb1ELb0E19rocblas_complex_numIdEPS1_Li16ELi16EEviT3_ilPT2_i
		.amdhsa_group_segment_fixed_size 0
		.amdhsa_private_segment_fixed_size 0
		.amdhsa_kernarg_size 304
		.amdhsa_user_sgpr_count 2
		.amdhsa_user_sgpr_dispatch_ptr 0
		.amdhsa_user_sgpr_queue_ptr 0
		.amdhsa_user_sgpr_kernarg_segment_ptr 1
		.amdhsa_user_sgpr_dispatch_id 0
		.amdhsa_user_sgpr_kernarg_preload_length 0
		.amdhsa_user_sgpr_kernarg_preload_offset 0
		.amdhsa_user_sgpr_private_segment_size 0
		.amdhsa_wavefront_size32 1
		.amdhsa_uses_dynamic_stack 0
		.amdhsa_enable_private_segment 0
		.amdhsa_system_sgpr_workgroup_id_x 1
		.amdhsa_system_sgpr_workgroup_id_y 1
		.amdhsa_system_sgpr_workgroup_id_z 1
		.amdhsa_system_sgpr_workgroup_info 0
		.amdhsa_system_vgpr_workitem_id 1
		.amdhsa_next_free_vgpr 10
		.amdhsa_next_free_sgpr 21
		.amdhsa_named_barrier_count 0
		.amdhsa_reserve_vcc 1
		.amdhsa_float_round_mode_32 0
		.amdhsa_float_round_mode_16_64 0
		.amdhsa_float_denorm_mode_32 3
		.amdhsa_float_denorm_mode_16_64 3
		.amdhsa_fp16_overflow 0
		.amdhsa_memory_ordered 1
		.amdhsa_forward_progress 1
		.amdhsa_inst_pref_size 4
		.amdhsa_round_robin_scheduling 0
		.amdhsa_exception_fp_ieee_invalid_op 0
		.amdhsa_exception_fp_denorm_src 0
		.amdhsa_exception_fp_ieee_div_zero 0
		.amdhsa_exception_fp_ieee_overflow 0
		.amdhsa_exception_fp_ieee_underflow 0
		.amdhsa_exception_fp_ieee_inexact 0
		.amdhsa_exception_int_div_zero 0
	.end_amdhsa_kernel
	.section	.text._ZL40rocblas_copy_triangular_syrk_herk_kernelILb1ELb1ELb0E19rocblas_complex_numIdEPS1_Li16ELi16EEviT3_ilPT2_i,"axG",@progbits,_ZL40rocblas_copy_triangular_syrk_herk_kernelILb1ELb1ELb0E19rocblas_complex_numIdEPS1_Li16ELi16EEviT3_ilPT2_i,comdat
.Lfunc_end12:
	.size	_ZL40rocblas_copy_triangular_syrk_herk_kernelILb1ELb1ELb0E19rocblas_complex_numIdEPS1_Li16ELi16EEviT3_ilPT2_i, .Lfunc_end12-_ZL40rocblas_copy_triangular_syrk_herk_kernelILb1ELb1ELb0E19rocblas_complex_numIdEPS1_Li16ELi16EEviT3_ilPT2_i
                                        ; -- End function
	.set _ZL40rocblas_copy_triangular_syrk_herk_kernelILb1ELb1ELb0E19rocblas_complex_numIdEPS1_Li16ELi16EEviT3_ilPT2_i.num_vgpr, 10
	.set _ZL40rocblas_copy_triangular_syrk_herk_kernelILb1ELb1ELb0E19rocblas_complex_numIdEPS1_Li16ELi16EEviT3_ilPT2_i.num_agpr, 0
	.set _ZL40rocblas_copy_triangular_syrk_herk_kernelILb1ELb1ELb0E19rocblas_complex_numIdEPS1_Li16ELi16EEviT3_ilPT2_i.numbered_sgpr, 21
	.set _ZL40rocblas_copy_triangular_syrk_herk_kernelILb1ELb1ELb0E19rocblas_complex_numIdEPS1_Li16ELi16EEviT3_ilPT2_i.num_named_barrier, 0
	.set _ZL40rocblas_copy_triangular_syrk_herk_kernelILb1ELb1ELb0E19rocblas_complex_numIdEPS1_Li16ELi16EEviT3_ilPT2_i.private_seg_size, 0
	.set _ZL40rocblas_copy_triangular_syrk_herk_kernelILb1ELb1ELb0E19rocblas_complex_numIdEPS1_Li16ELi16EEviT3_ilPT2_i.uses_vcc, 1
	.set _ZL40rocblas_copy_triangular_syrk_herk_kernelILb1ELb1ELb0E19rocblas_complex_numIdEPS1_Li16ELi16EEviT3_ilPT2_i.uses_flat_scratch, 0
	.set _ZL40rocblas_copy_triangular_syrk_herk_kernelILb1ELb1ELb0E19rocblas_complex_numIdEPS1_Li16ELi16EEviT3_ilPT2_i.has_dyn_sized_stack, 0
	.set _ZL40rocblas_copy_triangular_syrk_herk_kernelILb1ELb1ELb0E19rocblas_complex_numIdEPS1_Li16ELi16EEviT3_ilPT2_i.has_recursion, 0
	.set _ZL40rocblas_copy_triangular_syrk_herk_kernelILb1ELb1ELb0E19rocblas_complex_numIdEPS1_Li16ELi16EEviT3_ilPT2_i.has_indirect_call, 0
	.section	.AMDGPU.csdata,"",@progbits
; Kernel info:
; codeLenInByte = 496
; TotalNumSgprs: 23
; NumVgprs: 10
; ScratchSize: 0
; MemoryBound: 0
; FloatMode: 240
; IeeeMode: 1
; LDSByteSize: 0 bytes/workgroup (compile time only)
; SGPRBlocks: 0
; VGPRBlocks: 0
; NumSGPRsForWavesPerEU: 23
; NumVGPRsForWavesPerEU: 10
; NamedBarCnt: 0
; Occupancy: 16
; WaveLimiterHint : 0
; COMPUTE_PGM_RSRC2:SCRATCH_EN: 0
; COMPUTE_PGM_RSRC2:USER_SGPR: 2
; COMPUTE_PGM_RSRC2:TRAP_HANDLER: 0
; COMPUTE_PGM_RSRC2:TGID_X_EN: 1
; COMPUTE_PGM_RSRC2:TGID_Y_EN: 1
; COMPUTE_PGM_RSRC2:TGID_Z_EN: 1
; COMPUTE_PGM_RSRC2:TIDIG_COMP_CNT: 1
	.section	.text._ZL40rocblas_copy_triangular_syrk_herk_kernelILb1ELb0ELb0E19rocblas_complex_numIdEPS1_Li16ELi16EEviT3_ilPT2_i,"axG",@progbits,_ZL40rocblas_copy_triangular_syrk_herk_kernelILb1ELb0ELb0E19rocblas_complex_numIdEPS1_Li16ELi16EEviT3_ilPT2_i,comdat
	.globl	_ZL40rocblas_copy_triangular_syrk_herk_kernelILb1ELb0ELb0E19rocblas_complex_numIdEPS1_Li16ELi16EEviT3_ilPT2_i ; -- Begin function _ZL40rocblas_copy_triangular_syrk_herk_kernelILb1ELb0ELb0E19rocblas_complex_numIdEPS1_Li16ELi16EEviT3_ilPT2_i
	.p2align	8
	.type	_ZL40rocblas_copy_triangular_syrk_herk_kernelILb1ELb0ELb0E19rocblas_complex_numIdEPS1_Li16ELi16EEviT3_ilPT2_i,@function
_ZL40rocblas_copy_triangular_syrk_herk_kernelILb1ELb0ELb0E19rocblas_complex_numIdEPS1_Li16ELi16EEviT3_ilPT2_i: ; @_ZL40rocblas_copy_triangular_syrk_herk_kernelILb1ELb0ELb0E19rocblas_complex_numIdEPS1_Li16ELi16EEviT3_ilPT2_i
; %bb.0:
	s_load_b32 s11, s[0:1], 0x28
	s_bfe_u32 s2, ttmp6, 0x40014
	s_lshr_b32 s3, ttmp7, 16
	s_add_co_i32 s2, s2, 1
	s_bfe_u32 s5, ttmp6, 0x40008
	s_mul_i32 s2, s3, s2
	s_getreg_b32 s4, hwreg(HW_REG_IB_STS2, 6, 4)
	s_add_co_i32 s5, s5, s2
	s_cmp_eq_u32 s4, 0
	s_cselect_b32 s2, s3, s5
	s_mov_b32 s3, 0
	s_wait_kmcnt 0x0
	s_cmp_ge_u32 s2, s11
	s_cbranch_scc1 .LBB13_5
; %bb.1:
	s_clause 0x2
	s_load_b32 s14, s[0:1], 0x0
	s_load_b96 s[8:10], s[0:1], 0x8
	s_load_b32 s16, s[0:1], 0x3c
	s_bfe_u32 s12, ttmp6, 0x4000c
	s_bfe_u32 s5, ttmp6, 0x40010
	s_add_co_i32 s12, s12, 1
	s_and_b32 s17, ttmp7, 0xffff
	s_mul_i32 s19, ttmp9, s12
	s_add_co_i32 s5, s5, 1
	s_bfe_u32 s6, ttmp6, 0x40004
	s_mul_i32 s5, s17, s5
	s_mov_b32 s7, s3
	s_add_co_i32 s20, s6, s5
	s_and_b32 s18, ttmp6, 15
	v_and_b32_e32 v1, 0x3ff, v0
	s_add_co_i32 s18, s18, s19
	v_bfe_u32 v0, v0, 10, 10
	s_wait_kmcnt 0x0
	s_add_co_i32 s12, s14, -1
	s_ashr_i32 s15, s14, 31
	s_ashr_i32 s13, s12, 31
	;; [unrolled: 1-line block ×3, first 2 shown]
	s_mul_u64 s[12:13], s[12:13], s[14:15]
	s_lshr_b32 s15, s16, 16
	s_lshr_b32 s6, s13, 31
	s_and_b32 s16, s16, 0xffff
	s_add_nc_u64 s[6:7], s[12:13], s[6:7]
	s_delay_alu instid0(SALU_CYCLE_1)
	s_ashr_i64 s[12:13], s[6:7], 1
	s_cmp_eq_u32 s4, 0
	s_cselect_b32 s4, ttmp9, s18
	s_cselect_b32 s6, s17, s20
	v_mad_u32 v2, s4, s16, v1
	v_mad_u32 v4, s6, s15, v0
	s_mov_b32 s4, s10
	s_delay_alu instid0(VALU_DEP_1) | instskip(SKIP_2) | instid1(VALU_DEP_3)
	v_dual_ashrrev_i32 v3, 31, v2 :: v_dual_max_i32 v9, v4, v2
	v_not_b32_e32 v8, v4
	v_cmp_lt_i32_e32 vcc_lo, v4, v2
	v_mul_u64_e32 v[0:1], s[4:5], v[2:3]
	s_load_b128 s[4:7], s[0:1], 0x18
	s_delay_alu instid0(VALU_DEP_3) | instskip(SKIP_2) | instid1(VALU_DEP_2)
	v_lshl_add_u32 v3, s14, 1, v8
	s_wait_xcnt 0x0
	v_cmp_gt_i32_e64 s0, s14, v9
	v_mul_lo_u32 v3, v3, v4
	s_and_b32 s0, vcc_lo, s0
	s_delay_alu instid0(VALU_DEP_1) | instskip(NEXT) | instid1(VALU_DEP_1)
	v_lshrrev_b32_e32 v5, 31, v3
	v_dual_add_nc_u32 v3, v3, v5 :: v_dual_ashrrev_i32 v5, 31, v4
	s_delay_alu instid0(VALU_DEP_1) | instskip(SKIP_1) | instid1(VALU_DEP_2)
	v_ashrrev_i32_e32 v3, 1, v3
	v_lshl_add_u64 v[6:7], v[0:1], 4, s[8:9]
	v_add3_u32 v0, v2, v8, v3
	s_delay_alu instid0(VALU_DEP_2) | instskip(NEXT) | instid1(VALU_DEP_2)
	v_lshl_add_u64 v[2:3], v[4:5], 4, v[6:7]
	v_ashrrev_i32_e32 v1, 31, v0
	s_branch .LBB13_3
.LBB13_2:                               ;   in Loop: Header=BB13_3 Depth=1
	s_wait_xcnt 0x0
	s_or_b32 exec_lo, exec_lo, s1
	s_add_co_i32 s2, s2, 0x10000
	s_delay_alu instid0(SALU_CYCLE_1)
	s_cmp_lt_u32 s2, s11
	s_cbranch_scc0 .LBB13_5
.LBB13_3:                               ; =>This Inner Loop Header: Depth=1
	s_mul_u64 s[8:9], s[12:13], s[2:3]
	s_delay_alu instid0(SALU_CYCLE_1)
	s_lshl_b64 s[8:9], s[8:9], 4
	s_wait_kmcnt 0x0
	s_add_nc_u64 s[6:7], s[6:7], s[8:9]
	s_and_saveexec_b32 s1, s0
	s_cbranch_execz .LBB13_2
; %bb.4:                                ;   in Loop: Header=BB13_3 Depth=1
	s_mul_u64 s[8:9], s[4:5], s[2:3]
	v_lshl_add_u64 v[8:9], v[0:1], 4, s[6:7]
	v_lshl_add_u64 v[4:5], s[8:9], 4, v[2:3]
	global_load_b128 v[4:7], v[4:5], off
	s_wait_loadcnt 0x0
	global_store_b128 v[8:9], v[4:7], off
	s_branch .LBB13_2
.LBB13_5:
	s_endpgm
	.section	.rodata,"a",@progbits
	.p2align	6, 0x0
	.amdhsa_kernel _ZL40rocblas_copy_triangular_syrk_herk_kernelILb1ELb0ELb0E19rocblas_complex_numIdEPS1_Li16ELi16EEviT3_ilPT2_i
		.amdhsa_group_segment_fixed_size 0
		.amdhsa_private_segment_fixed_size 0
		.amdhsa_kernarg_size 304
		.amdhsa_user_sgpr_count 2
		.amdhsa_user_sgpr_dispatch_ptr 0
		.amdhsa_user_sgpr_queue_ptr 0
		.amdhsa_user_sgpr_kernarg_segment_ptr 1
		.amdhsa_user_sgpr_dispatch_id 0
		.amdhsa_user_sgpr_kernarg_preload_length 0
		.amdhsa_user_sgpr_kernarg_preload_offset 0
		.amdhsa_user_sgpr_private_segment_size 0
		.amdhsa_wavefront_size32 1
		.amdhsa_uses_dynamic_stack 0
		.amdhsa_enable_private_segment 0
		.amdhsa_system_sgpr_workgroup_id_x 1
		.amdhsa_system_sgpr_workgroup_id_y 1
		.amdhsa_system_sgpr_workgroup_id_z 1
		.amdhsa_system_sgpr_workgroup_info 0
		.amdhsa_system_vgpr_workitem_id 1
		.amdhsa_next_free_vgpr 10
		.amdhsa_next_free_sgpr 21
		.amdhsa_named_barrier_count 0
		.amdhsa_reserve_vcc 1
		.amdhsa_float_round_mode_32 0
		.amdhsa_float_round_mode_16_64 0
		.amdhsa_float_denorm_mode_32 3
		.amdhsa_float_denorm_mode_16_64 3
		.amdhsa_fp16_overflow 0
		.amdhsa_memory_ordered 1
		.amdhsa_forward_progress 1
		.amdhsa_inst_pref_size 4
		.amdhsa_round_robin_scheduling 0
		.amdhsa_exception_fp_ieee_invalid_op 0
		.amdhsa_exception_fp_denorm_src 0
		.amdhsa_exception_fp_ieee_div_zero 0
		.amdhsa_exception_fp_ieee_overflow 0
		.amdhsa_exception_fp_ieee_underflow 0
		.amdhsa_exception_fp_ieee_inexact 0
		.amdhsa_exception_int_div_zero 0
	.end_amdhsa_kernel
	.section	.text._ZL40rocblas_copy_triangular_syrk_herk_kernelILb1ELb0ELb0E19rocblas_complex_numIdEPS1_Li16ELi16EEviT3_ilPT2_i,"axG",@progbits,_ZL40rocblas_copy_triangular_syrk_herk_kernelILb1ELb0ELb0E19rocblas_complex_numIdEPS1_Li16ELi16EEviT3_ilPT2_i,comdat
.Lfunc_end13:
	.size	_ZL40rocblas_copy_triangular_syrk_herk_kernelILb1ELb0ELb0E19rocblas_complex_numIdEPS1_Li16ELi16EEviT3_ilPT2_i, .Lfunc_end13-_ZL40rocblas_copy_triangular_syrk_herk_kernelILb1ELb0ELb0E19rocblas_complex_numIdEPS1_Li16ELi16EEviT3_ilPT2_i
                                        ; -- End function
	.set _ZL40rocblas_copy_triangular_syrk_herk_kernelILb1ELb0ELb0E19rocblas_complex_numIdEPS1_Li16ELi16EEviT3_ilPT2_i.num_vgpr, 10
	.set _ZL40rocblas_copy_triangular_syrk_herk_kernelILb1ELb0ELb0E19rocblas_complex_numIdEPS1_Li16ELi16EEviT3_ilPT2_i.num_agpr, 0
	.set _ZL40rocblas_copy_triangular_syrk_herk_kernelILb1ELb0ELb0E19rocblas_complex_numIdEPS1_Li16ELi16EEviT3_ilPT2_i.numbered_sgpr, 21
	.set _ZL40rocblas_copy_triangular_syrk_herk_kernelILb1ELb0ELb0E19rocblas_complex_numIdEPS1_Li16ELi16EEviT3_ilPT2_i.num_named_barrier, 0
	.set _ZL40rocblas_copy_triangular_syrk_herk_kernelILb1ELb0ELb0E19rocblas_complex_numIdEPS1_Li16ELi16EEviT3_ilPT2_i.private_seg_size, 0
	.set _ZL40rocblas_copy_triangular_syrk_herk_kernelILb1ELb0ELb0E19rocblas_complex_numIdEPS1_Li16ELi16EEviT3_ilPT2_i.uses_vcc, 1
	.set _ZL40rocblas_copy_triangular_syrk_herk_kernelILb1ELb0ELb0E19rocblas_complex_numIdEPS1_Li16ELi16EEviT3_ilPT2_i.uses_flat_scratch, 0
	.set _ZL40rocblas_copy_triangular_syrk_herk_kernelILb1ELb0ELb0E19rocblas_complex_numIdEPS1_Li16ELi16EEviT3_ilPT2_i.has_dyn_sized_stack, 0
	.set _ZL40rocblas_copy_triangular_syrk_herk_kernelILb1ELb0ELb0E19rocblas_complex_numIdEPS1_Li16ELi16EEviT3_ilPT2_i.has_recursion, 0
	.set _ZL40rocblas_copy_triangular_syrk_herk_kernelILb1ELb0ELb0E19rocblas_complex_numIdEPS1_Li16ELi16EEviT3_ilPT2_i.has_indirect_call, 0
	.section	.AMDGPU.csdata,"",@progbits
; Kernel info:
; codeLenInByte = 508
; TotalNumSgprs: 23
; NumVgprs: 10
; ScratchSize: 0
; MemoryBound: 0
; FloatMode: 240
; IeeeMode: 1
; LDSByteSize: 0 bytes/workgroup (compile time only)
; SGPRBlocks: 0
; VGPRBlocks: 0
; NumSGPRsForWavesPerEU: 23
; NumVGPRsForWavesPerEU: 10
; NamedBarCnt: 0
; Occupancy: 16
; WaveLimiterHint : 0
; COMPUTE_PGM_RSRC2:SCRATCH_EN: 0
; COMPUTE_PGM_RSRC2:USER_SGPR: 2
; COMPUTE_PGM_RSRC2:TRAP_HANDLER: 0
; COMPUTE_PGM_RSRC2:TGID_X_EN: 1
; COMPUTE_PGM_RSRC2:TGID_Y_EN: 1
; COMPUTE_PGM_RSRC2:TGID_Z_EN: 1
; COMPUTE_PGM_RSRC2:TIDIG_COMP_CNT: 1
	.section	.text._ZL40rocblas_copy_triangular_syrk_herk_kernelILb0ELb1ELb0E19rocblas_complex_numIdEPS1_Li16ELi16EEviT3_ilPT2_i,"axG",@progbits,_ZL40rocblas_copy_triangular_syrk_herk_kernelILb0ELb1ELb0E19rocblas_complex_numIdEPS1_Li16ELi16EEviT3_ilPT2_i,comdat
	.globl	_ZL40rocblas_copy_triangular_syrk_herk_kernelILb0ELb1ELb0E19rocblas_complex_numIdEPS1_Li16ELi16EEviT3_ilPT2_i ; -- Begin function _ZL40rocblas_copy_triangular_syrk_herk_kernelILb0ELb1ELb0E19rocblas_complex_numIdEPS1_Li16ELi16EEviT3_ilPT2_i
	.p2align	8
	.type	_ZL40rocblas_copy_triangular_syrk_herk_kernelILb0ELb1ELb0E19rocblas_complex_numIdEPS1_Li16ELi16EEviT3_ilPT2_i,@function
_ZL40rocblas_copy_triangular_syrk_herk_kernelILb0ELb1ELb0E19rocblas_complex_numIdEPS1_Li16ELi16EEviT3_ilPT2_i: ; @_ZL40rocblas_copy_triangular_syrk_herk_kernelILb0ELb1ELb0E19rocblas_complex_numIdEPS1_Li16ELi16EEviT3_ilPT2_i
; %bb.0:
	s_load_b32 s11, s[0:1], 0x28
	s_bfe_u32 s2, ttmp6, 0x40014
	s_lshr_b32 s3, ttmp7, 16
	s_add_co_i32 s2, s2, 1
	s_bfe_u32 s5, ttmp6, 0x40008
	s_mul_i32 s2, s3, s2
	s_getreg_b32 s4, hwreg(HW_REG_IB_STS2, 6, 4)
	s_add_co_i32 s5, s5, s2
	s_cmp_eq_u32 s4, 0
	s_cselect_b32 s2, s3, s5
	s_mov_b32 s3, 0
	s_wait_kmcnt 0x0
	s_cmp_ge_u32 s2, s11
	s_cbranch_scc1 .LBB14_5
; %bb.1:
	s_clause 0x2
	s_load_b32 s14, s[0:1], 0x0
	s_load_b96 s[8:10], s[0:1], 0x8
	s_load_b32 s16, s[0:1], 0x3c
	s_bfe_u32 s12, ttmp6, 0x4000c
	s_bfe_u32 s5, ttmp6, 0x40010
	s_add_co_i32 s12, s12, 1
	s_and_b32 s17, ttmp7, 0xffff
	s_mul_i32 s19, ttmp9, s12
	s_add_co_i32 s5, s5, 1
	s_bfe_u32 s6, ttmp6, 0x40004
	s_mul_i32 s5, s17, s5
	s_mov_b32 s7, s3
	s_add_co_i32 s20, s6, s5
	s_and_b32 s18, ttmp6, 15
	v_and_b32_e32 v1, 0x3ff, v0
	s_add_co_i32 s18, s18, s19
	v_bfe_u32 v0, v0, 10, 10
	s_wait_kmcnt 0x0
	s_add_co_i32 s12, s14, -1
	s_ashr_i32 s15, s14, 31
	s_ashr_i32 s13, s12, 31
	s_ashr_i32 s5, s10, 31
	s_mul_u64 s[12:13], s[12:13], s[14:15]
	s_lshr_b32 s15, s16, 16
	s_lshr_b32 s6, s13, 31
	s_and_b32 s16, s16, 0xffff
	s_add_nc_u64 s[6:7], s[12:13], s[6:7]
	s_delay_alu instid0(SALU_CYCLE_1) | instskip(SKIP_2) | instid1(SALU_CYCLE_1)
	s_ashr_i64 s[12:13], s[6:7], 1
	s_cmp_eq_u32 s4, 0
	s_cselect_b32 s4, ttmp9, s18
	v_mad_u32 v2, s4, s16, v1
	s_cselect_b32 s4, s17, s20
	s_delay_alu instid0(SALU_CYCLE_1) | instskip(SKIP_1) | instid1(VALU_DEP_1)
	v_mad_u32 v4, s4, s15, v0
	s_mov_b32 s4, s10
	v_dual_ashrrev_i32 v3, 31, v2 :: v_dual_add_nc_u32 v0, -1, v4
	v_ashrrev_i32_e32 v5, 31, v4
	s_delay_alu instid0(VALU_DEP_2) | instskip(SKIP_4) | instid1(VALU_DEP_1)
	v_mul_u64_e32 v[6:7], s[4:5], v[2:3]
	s_load_b128 s[4:7], s[0:1], 0x18
	s_wait_xcnt 0x0
	v_cmp_gt_i32_e64 s0, v4, v2
	v_mul_lo_u32 v0, v0, v4
	v_lshrrev_b32_e32 v1, 31, v0
	s_delay_alu instid0(VALU_DEP_1) | instskip(NEXT) | instid1(VALU_DEP_1)
	v_add_nc_u32_e32 v0, v0, v1
	v_dual_ashrrev_i32 v0, 1, v0 :: v_dual_max_i32 v1, v4, v2
	s_delay_alu instid0(VALU_DEP_1) | instskip(NEXT) | instid1(VALU_DEP_2)
	v_cmp_gt_i32_e32 vcc_lo, s14, v1
	v_add_nc_u32_e32 v0, v0, v2
	s_and_b32 s0, s0, vcc_lo
	v_lshl_add_u64 v[6:7], v[6:7], 4, s[8:9]
	s_delay_alu instid0(VALU_DEP_2) | instskip(NEXT) | instid1(VALU_DEP_2)
	v_ashrrev_i32_e32 v1, 31, v0
	v_lshl_add_u64 v[2:3], v[4:5], 4, v[6:7]
	s_branch .LBB14_3
.LBB14_2:                               ;   in Loop: Header=BB14_3 Depth=1
	s_wait_xcnt 0x0
	s_or_b32 exec_lo, exec_lo, s1
	s_add_co_i32 s2, s2, 0x10000
	s_delay_alu instid0(SALU_CYCLE_1)
	s_cmp_lt_u32 s2, s11
	s_cbranch_scc0 .LBB14_5
.LBB14_3:                               ; =>This Inner Loop Header: Depth=1
	s_mul_u64 s[8:9], s[12:13], s[2:3]
	s_delay_alu instid0(SALU_CYCLE_1)
	s_lshl_b64 s[8:9], s[8:9], 4
	s_wait_kmcnt 0x0
	s_add_nc_u64 s[6:7], s[6:7], s[8:9]
	s_and_saveexec_b32 s1, s0
	s_cbranch_execz .LBB14_2
; %bb.4:                                ;   in Loop: Header=BB14_3 Depth=1
	v_lshl_add_u64 v[4:5], v[0:1], 4, s[6:7]
	s_mul_u64 s[8:9], s[4:5], s[2:3]
	s_delay_alu instid0(SALU_CYCLE_1)
	v_lshl_add_u64 v[8:9], s[8:9], 4, v[2:3]
	global_load_b128 v[4:7], v[4:5], off
	s_wait_loadcnt 0x0
	global_store_b128 v[8:9], v[4:7], off
	s_branch .LBB14_2
.LBB14_5:
	s_endpgm
	.section	.rodata,"a",@progbits
	.p2align	6, 0x0
	.amdhsa_kernel _ZL40rocblas_copy_triangular_syrk_herk_kernelILb0ELb1ELb0E19rocblas_complex_numIdEPS1_Li16ELi16EEviT3_ilPT2_i
		.amdhsa_group_segment_fixed_size 0
		.amdhsa_private_segment_fixed_size 0
		.amdhsa_kernarg_size 304
		.amdhsa_user_sgpr_count 2
		.amdhsa_user_sgpr_dispatch_ptr 0
		.amdhsa_user_sgpr_queue_ptr 0
		.amdhsa_user_sgpr_kernarg_segment_ptr 1
		.amdhsa_user_sgpr_dispatch_id 0
		.amdhsa_user_sgpr_kernarg_preload_length 0
		.amdhsa_user_sgpr_kernarg_preload_offset 0
		.amdhsa_user_sgpr_private_segment_size 0
		.amdhsa_wavefront_size32 1
		.amdhsa_uses_dynamic_stack 0
		.amdhsa_enable_private_segment 0
		.amdhsa_system_sgpr_workgroup_id_x 1
		.amdhsa_system_sgpr_workgroup_id_y 1
		.amdhsa_system_sgpr_workgroup_id_z 1
		.amdhsa_system_sgpr_workgroup_info 0
		.amdhsa_system_vgpr_workitem_id 1
		.amdhsa_next_free_vgpr 10
		.amdhsa_next_free_sgpr 21
		.amdhsa_named_barrier_count 0
		.amdhsa_reserve_vcc 1
		.amdhsa_float_round_mode_32 0
		.amdhsa_float_round_mode_16_64 0
		.amdhsa_float_denorm_mode_32 3
		.amdhsa_float_denorm_mode_16_64 3
		.amdhsa_fp16_overflow 0
		.amdhsa_memory_ordered 1
		.amdhsa_forward_progress 1
		.amdhsa_inst_pref_size 4
		.amdhsa_round_robin_scheduling 0
		.amdhsa_exception_fp_ieee_invalid_op 0
		.amdhsa_exception_fp_denorm_src 0
		.amdhsa_exception_fp_ieee_div_zero 0
		.amdhsa_exception_fp_ieee_overflow 0
		.amdhsa_exception_fp_ieee_underflow 0
		.amdhsa_exception_fp_ieee_inexact 0
		.amdhsa_exception_int_div_zero 0
	.end_amdhsa_kernel
	.section	.text._ZL40rocblas_copy_triangular_syrk_herk_kernelILb0ELb1ELb0E19rocblas_complex_numIdEPS1_Li16ELi16EEviT3_ilPT2_i,"axG",@progbits,_ZL40rocblas_copy_triangular_syrk_herk_kernelILb0ELb1ELb0E19rocblas_complex_numIdEPS1_Li16ELi16EEviT3_ilPT2_i,comdat
.Lfunc_end14:
	.size	_ZL40rocblas_copy_triangular_syrk_herk_kernelILb0ELb1ELb0E19rocblas_complex_numIdEPS1_Li16ELi16EEviT3_ilPT2_i, .Lfunc_end14-_ZL40rocblas_copy_triangular_syrk_herk_kernelILb0ELb1ELb0E19rocblas_complex_numIdEPS1_Li16ELi16EEviT3_ilPT2_i
                                        ; -- End function
	.set _ZL40rocblas_copy_triangular_syrk_herk_kernelILb0ELb1ELb0E19rocblas_complex_numIdEPS1_Li16ELi16EEviT3_ilPT2_i.num_vgpr, 10
	.set _ZL40rocblas_copy_triangular_syrk_herk_kernelILb0ELb1ELb0E19rocblas_complex_numIdEPS1_Li16ELi16EEviT3_ilPT2_i.num_agpr, 0
	.set _ZL40rocblas_copy_triangular_syrk_herk_kernelILb0ELb1ELb0E19rocblas_complex_numIdEPS1_Li16ELi16EEviT3_ilPT2_i.numbered_sgpr, 21
	.set _ZL40rocblas_copy_triangular_syrk_herk_kernelILb0ELb1ELb0E19rocblas_complex_numIdEPS1_Li16ELi16EEviT3_ilPT2_i.num_named_barrier, 0
	.set _ZL40rocblas_copy_triangular_syrk_herk_kernelILb0ELb1ELb0E19rocblas_complex_numIdEPS1_Li16ELi16EEviT3_ilPT2_i.private_seg_size, 0
	.set _ZL40rocblas_copy_triangular_syrk_herk_kernelILb0ELb1ELb0E19rocblas_complex_numIdEPS1_Li16ELi16EEviT3_ilPT2_i.uses_vcc, 1
	.set _ZL40rocblas_copy_triangular_syrk_herk_kernelILb0ELb1ELb0E19rocblas_complex_numIdEPS1_Li16ELi16EEviT3_ilPT2_i.uses_flat_scratch, 0
	.set _ZL40rocblas_copy_triangular_syrk_herk_kernelILb0ELb1ELb0E19rocblas_complex_numIdEPS1_Li16ELi16EEviT3_ilPT2_i.has_dyn_sized_stack, 0
	.set _ZL40rocblas_copy_triangular_syrk_herk_kernelILb0ELb1ELb0E19rocblas_complex_numIdEPS1_Li16ELi16EEviT3_ilPT2_i.has_recursion, 0
	.set _ZL40rocblas_copy_triangular_syrk_herk_kernelILb0ELb1ELb0E19rocblas_complex_numIdEPS1_Li16ELi16EEviT3_ilPT2_i.has_indirect_call, 0
	.section	.AMDGPU.csdata,"",@progbits
; Kernel info:
; codeLenInByte = 500
; TotalNumSgprs: 23
; NumVgprs: 10
; ScratchSize: 0
; MemoryBound: 0
; FloatMode: 240
; IeeeMode: 1
; LDSByteSize: 0 bytes/workgroup (compile time only)
; SGPRBlocks: 0
; VGPRBlocks: 0
; NumSGPRsForWavesPerEU: 23
; NumVGPRsForWavesPerEU: 10
; NamedBarCnt: 0
; Occupancy: 16
; WaveLimiterHint : 0
; COMPUTE_PGM_RSRC2:SCRATCH_EN: 0
; COMPUTE_PGM_RSRC2:USER_SGPR: 2
; COMPUTE_PGM_RSRC2:TRAP_HANDLER: 0
; COMPUTE_PGM_RSRC2:TGID_X_EN: 1
; COMPUTE_PGM_RSRC2:TGID_Y_EN: 1
; COMPUTE_PGM_RSRC2:TGID_Z_EN: 1
; COMPUTE_PGM_RSRC2:TIDIG_COMP_CNT: 1
	.section	.text._ZL40rocblas_copy_triangular_syrk_herk_kernelILb0ELb0ELb0E19rocblas_complex_numIdEPS1_Li16ELi16EEviT3_ilPT2_i,"axG",@progbits,_ZL40rocblas_copy_triangular_syrk_herk_kernelILb0ELb0ELb0E19rocblas_complex_numIdEPS1_Li16ELi16EEviT3_ilPT2_i,comdat
	.globl	_ZL40rocblas_copy_triangular_syrk_herk_kernelILb0ELb0ELb0E19rocblas_complex_numIdEPS1_Li16ELi16EEviT3_ilPT2_i ; -- Begin function _ZL40rocblas_copy_triangular_syrk_herk_kernelILb0ELb0ELb0E19rocblas_complex_numIdEPS1_Li16ELi16EEviT3_ilPT2_i
	.p2align	8
	.type	_ZL40rocblas_copy_triangular_syrk_herk_kernelILb0ELb0ELb0E19rocblas_complex_numIdEPS1_Li16ELi16EEviT3_ilPT2_i,@function
_ZL40rocblas_copy_triangular_syrk_herk_kernelILb0ELb0ELb0E19rocblas_complex_numIdEPS1_Li16ELi16EEviT3_ilPT2_i: ; @_ZL40rocblas_copy_triangular_syrk_herk_kernelILb0ELb0ELb0E19rocblas_complex_numIdEPS1_Li16ELi16EEviT3_ilPT2_i
; %bb.0:
	s_load_b32 s11, s[0:1], 0x28
	s_bfe_u32 s2, ttmp6, 0x40014
	s_lshr_b32 s3, ttmp7, 16
	s_add_co_i32 s2, s2, 1
	s_bfe_u32 s5, ttmp6, 0x40008
	s_mul_i32 s2, s3, s2
	s_getreg_b32 s4, hwreg(HW_REG_IB_STS2, 6, 4)
	s_add_co_i32 s5, s5, s2
	s_cmp_eq_u32 s4, 0
	s_cselect_b32 s2, s3, s5
	s_mov_b32 s3, 0
	s_wait_kmcnt 0x0
	s_cmp_ge_u32 s2, s11
	s_cbranch_scc1 .LBB15_5
; %bb.1:
	s_clause 0x2
	s_load_b32 s14, s[0:1], 0x0
	s_load_b96 s[8:10], s[0:1], 0x8
	s_load_b32 s16, s[0:1], 0x3c
	s_bfe_u32 s12, ttmp6, 0x4000c
	s_bfe_u32 s5, ttmp6, 0x40010
	s_add_co_i32 s12, s12, 1
	s_and_b32 s17, ttmp7, 0xffff
	s_mul_i32 s19, ttmp9, s12
	s_add_co_i32 s5, s5, 1
	s_bfe_u32 s6, ttmp6, 0x40004
	s_mul_i32 s5, s17, s5
	s_mov_b32 s7, s3
	s_add_co_i32 s20, s6, s5
	s_and_b32 s18, ttmp6, 15
	v_and_b32_e32 v1, 0x3ff, v0
	v_bfe_u32 v0, v0, 10, 10
	s_add_co_i32 s18, s18, s19
	s_wait_kmcnt 0x0
	s_add_co_i32 s12, s14, -1
	s_ashr_i32 s15, s14, 31
	s_ashr_i32 s13, s12, 31
	;; [unrolled: 1-line block ×3, first 2 shown]
	s_mul_u64 s[12:13], s[12:13], s[14:15]
	s_lshr_b32 s15, s16, 16
	s_lshr_b32 s6, s13, 31
	s_and_b32 s16, s16, 0xffff
	s_add_nc_u64 s[6:7], s[12:13], s[6:7]
	s_delay_alu instid0(SALU_CYCLE_1)
	s_ashr_i64 s[12:13], s[6:7], 1
	s_cmp_eq_u32 s4, 0
	s_cselect_b32 s4, s17, s20
	s_cselect_b32 s6, ttmp9, s18
	v_mad_u32 v2, s4, s15, v0
	v_mad_u32 v4, s6, s16, v1
	s_mov_b32 s4, s10
	s_delay_alu instid0(VALU_DEP_2) | instskip(NEXT) | instid1(VALU_DEP_1)
	v_not_b32_e32 v0, v2
	v_lshl_add_u32 v1, s14, 1, v0
	s_delay_alu instid0(VALU_DEP_1) | instskip(NEXT) | instid1(VALU_DEP_1)
	v_mul_lo_u32 v1, v1, v2
	v_dual_ashrrev_i32 v5, 31, v4 :: v_dual_lshrrev_b32 v3, 31, v1
	s_delay_alu instid0(VALU_DEP_1)
	v_mul_u64_e32 v[6:7], s[4:5], v[4:5]
	s_load_b128 s[4:7], s[0:1], 0x18
	s_wait_xcnt 0x0
	v_cmp_lt_i32_e64 s0, v2, v4
	v_dual_add_nc_u32 v1, v1, v3 :: v_dual_max_i32 v5, v2, v4
	v_ashrrev_i32_e32 v3, 31, v2
	s_delay_alu instid0(VALU_DEP_2) | instskip(NEXT) | instid1(VALU_DEP_3)
	v_cmp_gt_i32_e32 vcc_lo, s14, v5
	v_ashrrev_i32_e32 v1, 1, v1
	s_and_b32 s0, s0, vcc_lo
	s_delay_alu instid0(VALU_DEP_1) | instskip(NEXT) | instid1(VALU_DEP_1)
	v_add3_u32 v0, v4, v0, v1
	v_ashrrev_i32_e32 v1, 31, v0
	v_lshl_add_u64 v[6:7], v[6:7], 4, s[8:9]
	s_delay_alu instid0(VALU_DEP_1)
	v_lshl_add_u64 v[2:3], v[2:3], 4, v[6:7]
	s_branch .LBB15_3
.LBB15_2:                               ;   in Loop: Header=BB15_3 Depth=1
	s_wait_xcnt 0x0
	s_or_b32 exec_lo, exec_lo, s1
	s_add_co_i32 s2, s2, 0x10000
	s_delay_alu instid0(SALU_CYCLE_1)
	s_cmp_lt_u32 s2, s11
	s_cbranch_scc0 .LBB15_5
.LBB15_3:                               ; =>This Inner Loop Header: Depth=1
	s_mul_u64 s[8:9], s[12:13], s[2:3]
	s_delay_alu instid0(SALU_CYCLE_1)
	s_lshl_b64 s[8:9], s[8:9], 4
	s_wait_kmcnt 0x0
	s_add_nc_u64 s[6:7], s[6:7], s[8:9]
	s_and_saveexec_b32 s1, s0
	s_cbranch_execz .LBB15_2
; %bb.4:                                ;   in Loop: Header=BB15_3 Depth=1
	v_lshl_add_u64 v[4:5], v[0:1], 4, s[6:7]
	s_mul_u64 s[8:9], s[4:5], s[2:3]
	s_delay_alu instid0(SALU_CYCLE_1)
	v_lshl_add_u64 v[8:9], s[8:9], 4, v[2:3]
	global_load_b128 v[4:7], v[4:5], off
	s_wait_loadcnt 0x0
	global_store_b128 v[8:9], v[4:7], off
	s_branch .LBB15_2
.LBB15_5:
	s_endpgm
	.section	.rodata,"a",@progbits
	.p2align	6, 0x0
	.amdhsa_kernel _ZL40rocblas_copy_triangular_syrk_herk_kernelILb0ELb0ELb0E19rocblas_complex_numIdEPS1_Li16ELi16EEviT3_ilPT2_i
		.amdhsa_group_segment_fixed_size 0
		.amdhsa_private_segment_fixed_size 0
		.amdhsa_kernarg_size 304
		.amdhsa_user_sgpr_count 2
		.amdhsa_user_sgpr_dispatch_ptr 0
		.amdhsa_user_sgpr_queue_ptr 0
		.amdhsa_user_sgpr_kernarg_segment_ptr 1
		.amdhsa_user_sgpr_dispatch_id 0
		.amdhsa_user_sgpr_kernarg_preload_length 0
		.amdhsa_user_sgpr_kernarg_preload_offset 0
		.amdhsa_user_sgpr_private_segment_size 0
		.amdhsa_wavefront_size32 1
		.amdhsa_uses_dynamic_stack 0
		.amdhsa_enable_private_segment 0
		.amdhsa_system_sgpr_workgroup_id_x 1
		.amdhsa_system_sgpr_workgroup_id_y 1
		.amdhsa_system_sgpr_workgroup_id_z 1
		.amdhsa_system_sgpr_workgroup_info 0
		.amdhsa_system_vgpr_workitem_id 1
		.amdhsa_next_free_vgpr 10
		.amdhsa_next_free_sgpr 21
		.amdhsa_named_barrier_count 0
		.amdhsa_reserve_vcc 1
		.amdhsa_float_round_mode_32 0
		.amdhsa_float_round_mode_16_64 0
		.amdhsa_float_denorm_mode_32 3
		.amdhsa_float_denorm_mode_16_64 3
		.amdhsa_fp16_overflow 0
		.amdhsa_memory_ordered 1
		.amdhsa_forward_progress 1
		.amdhsa_inst_pref_size 5
		.amdhsa_round_robin_scheduling 0
		.amdhsa_exception_fp_ieee_invalid_op 0
		.amdhsa_exception_fp_denorm_src 0
		.amdhsa_exception_fp_ieee_div_zero 0
		.amdhsa_exception_fp_ieee_overflow 0
		.amdhsa_exception_fp_ieee_underflow 0
		.amdhsa_exception_fp_ieee_inexact 0
		.amdhsa_exception_int_div_zero 0
	.end_amdhsa_kernel
	.section	.text._ZL40rocblas_copy_triangular_syrk_herk_kernelILb0ELb0ELb0E19rocblas_complex_numIdEPS1_Li16ELi16EEviT3_ilPT2_i,"axG",@progbits,_ZL40rocblas_copy_triangular_syrk_herk_kernelILb0ELb0ELb0E19rocblas_complex_numIdEPS1_Li16ELi16EEviT3_ilPT2_i,comdat
.Lfunc_end15:
	.size	_ZL40rocblas_copy_triangular_syrk_herk_kernelILb0ELb0ELb0E19rocblas_complex_numIdEPS1_Li16ELi16EEviT3_ilPT2_i, .Lfunc_end15-_ZL40rocblas_copy_triangular_syrk_herk_kernelILb0ELb0ELb0E19rocblas_complex_numIdEPS1_Li16ELi16EEviT3_ilPT2_i
                                        ; -- End function
	.set _ZL40rocblas_copy_triangular_syrk_herk_kernelILb0ELb0ELb0E19rocblas_complex_numIdEPS1_Li16ELi16EEviT3_ilPT2_i.num_vgpr, 10
	.set _ZL40rocblas_copy_triangular_syrk_herk_kernelILb0ELb0ELb0E19rocblas_complex_numIdEPS1_Li16ELi16EEviT3_ilPT2_i.num_agpr, 0
	.set _ZL40rocblas_copy_triangular_syrk_herk_kernelILb0ELb0ELb0E19rocblas_complex_numIdEPS1_Li16ELi16EEviT3_ilPT2_i.numbered_sgpr, 21
	.set _ZL40rocblas_copy_triangular_syrk_herk_kernelILb0ELb0ELb0E19rocblas_complex_numIdEPS1_Li16ELi16EEviT3_ilPT2_i.num_named_barrier, 0
	.set _ZL40rocblas_copy_triangular_syrk_herk_kernelILb0ELb0ELb0E19rocblas_complex_numIdEPS1_Li16ELi16EEviT3_ilPT2_i.private_seg_size, 0
	.set _ZL40rocblas_copy_triangular_syrk_herk_kernelILb0ELb0ELb0E19rocblas_complex_numIdEPS1_Li16ELi16EEviT3_ilPT2_i.uses_vcc, 1
	.set _ZL40rocblas_copy_triangular_syrk_herk_kernelILb0ELb0ELb0E19rocblas_complex_numIdEPS1_Li16ELi16EEviT3_ilPT2_i.uses_flat_scratch, 0
	.set _ZL40rocblas_copy_triangular_syrk_herk_kernelILb0ELb0ELb0E19rocblas_complex_numIdEPS1_Li16ELi16EEviT3_ilPT2_i.has_dyn_sized_stack, 0
	.set _ZL40rocblas_copy_triangular_syrk_herk_kernelILb0ELb0ELb0E19rocblas_complex_numIdEPS1_Li16ELi16EEviT3_ilPT2_i.has_recursion, 0
	.set _ZL40rocblas_copy_triangular_syrk_herk_kernelILb0ELb0ELb0E19rocblas_complex_numIdEPS1_Li16ELi16EEviT3_ilPT2_i.has_indirect_call, 0
	.section	.AMDGPU.csdata,"",@progbits
; Kernel info:
; codeLenInByte = 516
; TotalNumSgprs: 23
; NumVgprs: 10
; ScratchSize: 0
; MemoryBound: 0
; FloatMode: 240
; IeeeMode: 1
; LDSByteSize: 0 bytes/workgroup (compile time only)
; SGPRBlocks: 0
; VGPRBlocks: 0
; NumSGPRsForWavesPerEU: 23
; NumVGPRsForWavesPerEU: 10
; NamedBarCnt: 0
; Occupancy: 16
; WaveLimiterHint : 0
; COMPUTE_PGM_RSRC2:SCRATCH_EN: 0
; COMPUTE_PGM_RSRC2:USER_SGPR: 2
; COMPUTE_PGM_RSRC2:TRAP_HANDLER: 0
; COMPUTE_PGM_RSRC2:TGID_X_EN: 1
; COMPUTE_PGM_RSRC2:TGID_Y_EN: 1
; COMPUTE_PGM_RSRC2:TGID_Z_EN: 1
; COMPUTE_PGM_RSRC2:TIDIG_COMP_CNT: 1
	.section	.text._ZL40rocblas_copy_triangular_syrk_herk_kernelILb1ELb1ELb0EfPKPfLi16ELi16EEviT3_ilPT2_i,"axG",@progbits,_ZL40rocblas_copy_triangular_syrk_herk_kernelILb1ELb1ELb0EfPKPfLi16ELi16EEviT3_ilPT2_i,comdat
	.globl	_ZL40rocblas_copy_triangular_syrk_herk_kernelILb1ELb1ELb0EfPKPfLi16ELi16EEviT3_ilPT2_i ; -- Begin function _ZL40rocblas_copy_triangular_syrk_herk_kernelILb1ELb1ELb0EfPKPfLi16ELi16EEviT3_ilPT2_i
	.p2align	8
	.type	_ZL40rocblas_copy_triangular_syrk_herk_kernelILb1ELb1ELb0EfPKPfLi16ELi16EEviT3_ilPT2_i,@function
_ZL40rocblas_copy_triangular_syrk_herk_kernelILb1ELb1ELb0EfPKPfLi16ELi16EEviT3_ilPT2_i: ; @_ZL40rocblas_copy_triangular_syrk_herk_kernelILb1ELb1ELb0EfPKPfLi16ELi16EEviT3_ilPT2_i
; %bb.0:
	s_load_b32 s7, s[0:1], 0x28
	s_bfe_u32 s2, ttmp6, 0x40014
	s_lshr_b32 s3, ttmp7, 16
	s_add_co_i32 s2, s2, 1
	s_bfe_u32 s4, ttmp6, 0x40008
	s_mul_i32 s2, s3, s2
	s_getreg_b32 s12, hwreg(HW_REG_IB_STS2, 6, 4)
	s_add_co_i32 s4, s4, s2
	s_cmp_eq_u32 s12, 0
	s_cselect_b32 s2, s3, s4
	s_mov_b32 s3, 0
	s_wait_kmcnt 0x0
	s_cmp_ge_u32 s2, s7
	s_cbranch_scc1 .LBB16_5
; %bb.1:
	s_clause 0x3
	s_load_b32 s14, s[0:1], 0x0
	s_load_b96 s[4:6], s[0:1], 0x8
	s_load_b32 s16, s[0:1], 0x3c
	s_load_b64 s[8:9], s[0:1], 0x20
	s_wait_xcnt 0x0
	s_bfe_u32 s0, ttmp6, 0x40010
	s_and_b32 s17, ttmp7, 0xffff
	s_add_co_i32 s0, s0, 1
	s_bfe_u32 s10, ttmp6, 0x40004
	s_bfe_u32 s11, ttmp6, 0x4000c
	s_mul_i32 s0, s17, s0
	s_add_co_i32 s11, s11, 1
	s_add_co_i32 s19, s10, s0
	s_mul_i32 s18, ttmp9, s11
	s_mov_b32 s1, s3
	s_and_b32 s13, ttmp6, 15
	v_bfe_u32 v1, v0, 10, 10
	s_add_co_i32 s18, s13, s18
	v_and_b32_e32 v2, 0x3ff, v0
	s_wait_kmcnt 0x0
	s_add_co_i32 s10, s14, -1
	s_ashr_i32 s15, s14, 31
	s_ashr_i32 s11, s10, 31
	;; [unrolled: 1-line block ×3, first 2 shown]
	s_mul_u64 s[10:11], s[10:11], s[14:15]
	s_lshr_b32 s15, s16, 16
	s_lshr_b32 s0, s11, 31
	s_and_b32 s16, s16, 0xffff
	s_add_nc_u64 s[0:1], s[10:11], s[0:1]
	s_delay_alu instid0(SALU_CYCLE_1) | instskip(SKIP_3) | instid1(SALU_CYCLE_1)
	s_ashr_i64 s[10:11], s[0:1], 1
	s_cmp_eq_u32 s12, 0
	s_mov_b32 s12, s6
	s_cselect_b32 s0, s17, s19
	v_mad_u32 v0, s0, s15, v1
	s_cselect_b32 s0, ttmp9, s18
	s_delay_alu instid0(SALU_CYCLE_1) | instskip(NEXT) | instid1(VALU_DEP_1)
	v_mad_u32 v6, s0, s16, v2
	v_dual_add_nc_u32 v1, -1, v0 :: v_dual_ashrrev_i32 v7, 31, v6
	v_cmp_gt_i32_e64 s0, v0, v6
	s_delay_alu instid0(VALU_DEP_2) | instskip(SKIP_1) | instid1(VALU_DEP_4)
	v_mul_lo_u32 v1, v1, v0
	v_max_i32_e32 v5, v0, v6
	v_mul_u64_e32 v[2:3], s[12:13], v[6:7]
	s_delay_alu instid0(VALU_DEP_2) | instskip(NEXT) | instid1(VALU_DEP_4)
	v_cmp_gt_i32_e32 vcc_lo, s14, v5
	v_lshrrev_b32_e32 v4, 31, v1
	s_and_b32 s0, s0, vcc_lo
	s_delay_alu instid0(VALU_DEP_1) | instskip(NEXT) | instid1(VALU_DEP_1)
	v_add_nc_u32_e32 v1, v1, v4
	v_ashrrev_i32_e32 v1, 1, v1
	s_delay_alu instid0(VALU_DEP_1) | instskip(NEXT) | instid1(VALU_DEP_1)
	v_dual_add_nc_u32 v4, v1, v6 :: v_dual_ashrrev_i32 v1, 31, v0
	v_ashrrev_i32_e32 v5, 31, v4
	s_branch .LBB16_3
.LBB16_2:                               ;   in Loop: Header=BB16_3 Depth=1
	s_wait_xcnt 0x0
	s_or_b32 exec_lo, exec_lo, s1
	s_add_co_i32 s2, s2, 0x10000
	s_delay_alu instid0(SALU_CYCLE_1)
	s_cmp_lt_u32 s2, s7
	s_cbranch_scc0 .LBB16_5
.LBB16_3:                               ; =>This Inner Loop Header: Depth=1
	s_mul_u64 s[12:13], s[10:11], s[2:3]
	s_delay_alu instid0(SALU_CYCLE_1) | instskip(NEXT) | instid1(SALU_CYCLE_1)
	s_lshl_b64 s[12:13], s[12:13], 2
	s_add_nc_u64 s[8:9], s[8:9], s[12:13]
	s_and_saveexec_b32 s1, s0
	s_cbranch_execz .LBB16_2
; %bb.4:                                ;   in Loop: Header=BB16_3 Depth=1
	s_lshl_b64 s[12:13], s[2:3], 3
	s_delay_alu instid0(SALU_CYCLE_1) | instskip(SKIP_3) | instid1(VALU_DEP_1)
	s_add_nc_u64 s[12:13], s[4:5], s[12:13]
	s_load_b64 s[12:13], s[12:13], 0x0
	s_wait_kmcnt 0x0
	v_lshl_add_u64 v[6:7], v[2:3], 2, s[12:13]
	v_lshl_add_u64 v[6:7], v[0:1], 2, v[6:7]
	flat_load_b32 v8, v[6:7]
	s_wait_xcnt 0x0
	v_lshl_add_u64 v[6:7], v[4:5], 2, s[8:9]
	s_wait_loadcnt_dscnt 0x0
	global_store_b32 v[6:7], v8, off
	s_branch .LBB16_2
.LBB16_5:
	s_endpgm
	.section	.rodata,"a",@progbits
	.p2align	6, 0x0
	.amdhsa_kernel _ZL40rocblas_copy_triangular_syrk_herk_kernelILb1ELb1ELb0EfPKPfLi16ELi16EEviT3_ilPT2_i
		.amdhsa_group_segment_fixed_size 0
		.amdhsa_private_segment_fixed_size 0
		.amdhsa_kernarg_size 304
		.amdhsa_user_sgpr_count 2
		.amdhsa_user_sgpr_dispatch_ptr 0
		.amdhsa_user_sgpr_queue_ptr 0
		.amdhsa_user_sgpr_kernarg_segment_ptr 1
		.amdhsa_user_sgpr_dispatch_id 0
		.amdhsa_user_sgpr_kernarg_preload_length 0
		.amdhsa_user_sgpr_kernarg_preload_offset 0
		.amdhsa_user_sgpr_private_segment_size 0
		.amdhsa_wavefront_size32 1
		.amdhsa_uses_dynamic_stack 0
		.amdhsa_enable_private_segment 0
		.amdhsa_system_sgpr_workgroup_id_x 1
		.amdhsa_system_sgpr_workgroup_id_y 1
		.amdhsa_system_sgpr_workgroup_id_z 1
		.amdhsa_system_sgpr_workgroup_info 0
		.amdhsa_system_vgpr_workitem_id 1
		.amdhsa_next_free_vgpr 9
		.amdhsa_next_free_sgpr 20
		.amdhsa_named_barrier_count 0
		.amdhsa_reserve_vcc 1
		.amdhsa_float_round_mode_32 0
		.amdhsa_float_round_mode_16_64 0
		.amdhsa_float_denorm_mode_32 3
		.amdhsa_float_denorm_mode_16_64 3
		.amdhsa_fp16_overflow 0
		.amdhsa_memory_ordered 1
		.amdhsa_forward_progress 1
		.amdhsa_inst_pref_size 4
		.amdhsa_round_robin_scheduling 0
		.amdhsa_exception_fp_ieee_invalid_op 0
		.amdhsa_exception_fp_denorm_src 0
		.amdhsa_exception_fp_ieee_div_zero 0
		.amdhsa_exception_fp_ieee_overflow 0
		.amdhsa_exception_fp_ieee_underflow 0
		.amdhsa_exception_fp_ieee_inexact 0
		.amdhsa_exception_int_div_zero 0
	.end_amdhsa_kernel
	.section	.text._ZL40rocblas_copy_triangular_syrk_herk_kernelILb1ELb1ELb0EfPKPfLi16ELi16EEviT3_ilPT2_i,"axG",@progbits,_ZL40rocblas_copy_triangular_syrk_herk_kernelILb1ELb1ELb0EfPKPfLi16ELi16EEviT3_ilPT2_i,comdat
.Lfunc_end16:
	.size	_ZL40rocblas_copy_triangular_syrk_herk_kernelILb1ELb1ELb0EfPKPfLi16ELi16EEviT3_ilPT2_i, .Lfunc_end16-_ZL40rocblas_copy_triangular_syrk_herk_kernelILb1ELb1ELb0EfPKPfLi16ELi16EEviT3_ilPT2_i
                                        ; -- End function
	.set _ZL40rocblas_copy_triangular_syrk_herk_kernelILb1ELb1ELb0EfPKPfLi16ELi16EEviT3_ilPT2_i.num_vgpr, 9
	.set _ZL40rocblas_copy_triangular_syrk_herk_kernelILb1ELb1ELb0EfPKPfLi16ELi16EEviT3_ilPT2_i.num_agpr, 0
	.set _ZL40rocblas_copy_triangular_syrk_herk_kernelILb1ELb1ELb0EfPKPfLi16ELi16EEviT3_ilPT2_i.numbered_sgpr, 20
	.set _ZL40rocblas_copy_triangular_syrk_herk_kernelILb1ELb1ELb0EfPKPfLi16ELi16EEviT3_ilPT2_i.num_named_barrier, 0
	.set _ZL40rocblas_copy_triangular_syrk_herk_kernelILb1ELb1ELb0EfPKPfLi16ELi16EEviT3_ilPT2_i.private_seg_size, 0
	.set _ZL40rocblas_copy_triangular_syrk_herk_kernelILb1ELb1ELb0EfPKPfLi16ELi16EEviT3_ilPT2_i.uses_vcc, 1
	.set _ZL40rocblas_copy_triangular_syrk_herk_kernelILb1ELb1ELb0EfPKPfLi16ELi16EEviT3_ilPT2_i.uses_flat_scratch, 0
	.set _ZL40rocblas_copy_triangular_syrk_herk_kernelILb1ELb1ELb0EfPKPfLi16ELi16EEviT3_ilPT2_i.has_dyn_sized_stack, 0
	.set _ZL40rocblas_copy_triangular_syrk_herk_kernelILb1ELb1ELb0EfPKPfLi16ELi16EEviT3_ilPT2_i.has_recursion, 0
	.set _ZL40rocblas_copy_triangular_syrk_herk_kernelILb1ELb1ELb0EfPKPfLi16ELi16EEviT3_ilPT2_i.has_indirect_call, 0
	.section	.AMDGPU.csdata,"",@progbits
; Kernel info:
; codeLenInByte = 508
; TotalNumSgprs: 22
; NumVgprs: 9
; ScratchSize: 0
; MemoryBound: 0
; FloatMode: 240
; IeeeMode: 1
; LDSByteSize: 0 bytes/workgroup (compile time only)
; SGPRBlocks: 0
; VGPRBlocks: 0
; NumSGPRsForWavesPerEU: 22
; NumVGPRsForWavesPerEU: 9
; NamedBarCnt: 0
; Occupancy: 16
; WaveLimiterHint : 1
; COMPUTE_PGM_RSRC2:SCRATCH_EN: 0
; COMPUTE_PGM_RSRC2:USER_SGPR: 2
; COMPUTE_PGM_RSRC2:TRAP_HANDLER: 0
; COMPUTE_PGM_RSRC2:TGID_X_EN: 1
; COMPUTE_PGM_RSRC2:TGID_Y_EN: 1
; COMPUTE_PGM_RSRC2:TGID_Z_EN: 1
; COMPUTE_PGM_RSRC2:TIDIG_COMP_CNT: 1
	.section	.text._ZL40rocblas_copy_triangular_syrk_herk_kernelILb1ELb0ELb0EfPKPfLi16ELi16EEviT3_ilPT2_i,"axG",@progbits,_ZL40rocblas_copy_triangular_syrk_herk_kernelILb1ELb0ELb0EfPKPfLi16ELi16EEviT3_ilPT2_i,comdat
	.globl	_ZL40rocblas_copy_triangular_syrk_herk_kernelILb1ELb0ELb0EfPKPfLi16ELi16EEviT3_ilPT2_i ; -- Begin function _ZL40rocblas_copy_triangular_syrk_herk_kernelILb1ELb0ELb0EfPKPfLi16ELi16EEviT3_ilPT2_i
	.p2align	8
	.type	_ZL40rocblas_copy_triangular_syrk_herk_kernelILb1ELb0ELb0EfPKPfLi16ELi16EEviT3_ilPT2_i,@function
_ZL40rocblas_copy_triangular_syrk_herk_kernelILb1ELb0ELb0EfPKPfLi16ELi16EEviT3_ilPT2_i: ; @_ZL40rocblas_copy_triangular_syrk_herk_kernelILb1ELb0ELb0EfPKPfLi16ELi16EEviT3_ilPT2_i
; %bb.0:
	s_load_b32 s7, s[0:1], 0x28
	s_bfe_u32 s2, ttmp6, 0x40014
	s_lshr_b32 s3, ttmp7, 16
	s_add_co_i32 s2, s2, 1
	s_bfe_u32 s4, ttmp6, 0x40008
	s_mul_i32 s2, s3, s2
	s_getreg_b32 s12, hwreg(HW_REG_IB_STS2, 6, 4)
	s_add_co_i32 s4, s4, s2
	s_cmp_eq_u32 s12, 0
	s_cselect_b32 s2, s3, s4
	s_mov_b32 s3, 0
	s_wait_kmcnt 0x0
	s_cmp_ge_u32 s2, s7
	s_cbranch_scc1 .LBB17_5
; %bb.1:
	s_clause 0x3
	s_load_b32 s14, s[0:1], 0x0
	s_load_b96 s[4:6], s[0:1], 0x8
	s_load_b32 s16, s[0:1], 0x3c
	s_load_b64 s[8:9], s[0:1], 0x20
	s_wait_xcnt 0x0
	s_bfe_u32 s0, ttmp6, 0x40010
	s_and_b32 s17, ttmp7, 0xffff
	s_add_co_i32 s0, s0, 1
	s_bfe_u32 s10, ttmp6, 0x40004
	s_bfe_u32 s11, ttmp6, 0x4000c
	s_mul_i32 s0, s17, s0
	s_add_co_i32 s11, s11, 1
	s_add_co_i32 s19, s10, s0
	s_mul_i32 s18, ttmp9, s11
	s_mov_b32 s1, s3
	s_and_b32 s13, ttmp6, 15
	v_bfe_u32 v1, v0, 10, 10
	s_add_co_i32 s18, s13, s18
	v_and_b32_e32 v0, 0x3ff, v0
	s_wait_kmcnt 0x0
	s_add_co_i32 s10, s14, -1
	s_ashr_i32 s15, s14, 31
	s_ashr_i32 s11, s10, 31
	;; [unrolled: 1-line block ×3, first 2 shown]
	s_mul_u64 s[10:11], s[10:11], s[14:15]
	s_lshr_b32 s15, s16, 16
	s_lshr_b32 s0, s11, 31
	s_and_b32 s16, s16, 0xffff
	s_add_nc_u64 s[0:1], s[10:11], s[0:1]
	s_delay_alu instid0(SALU_CYCLE_1) | instskip(SKIP_3) | instid1(SALU_CYCLE_1)
	s_ashr_i64 s[10:11], s[0:1], 1
	s_cmp_eq_u32 s12, 0
	s_mov_b32 s12, s6
	s_cselect_b32 s0, s17, s19
	v_mad_u32 v2, s0, s15, v1
	s_cselect_b32 s0, ttmp9, s18
	s_delay_alu instid0(SALU_CYCLE_1) | instskip(NEXT) | instid1(VALU_DEP_2)
	v_mad_u32 v6, s0, s16, v0
	v_not_b32_e32 v3, v2
	s_delay_alu instid0(VALU_DEP_2) | instskip(NEXT) | instid1(VALU_DEP_2)
	v_cmp_lt_i32_e64 s0, v2, v6
	v_lshl_add_u32 v0, s14, 1, v3
	s_delay_alu instid0(VALU_DEP_1) | instskip(NEXT) | instid1(VALU_DEP_1)
	v_mul_lo_u32 v4, v0, v2
	v_dual_ashrrev_i32 v7, 31, v6 :: v_dual_lshrrev_b32 v5, 31, v4
	s_delay_alu instid0(VALU_DEP_1) | instskip(NEXT) | instid1(VALU_DEP_2)
	v_mul_u64_e32 v[0:1], s[12:13], v[6:7]
	v_dual_add_nc_u32 v4, v4, v5 :: v_dual_max_i32 v5, v2, v6
	s_delay_alu instid0(VALU_DEP_1) | instskip(NEXT) | instid1(VALU_DEP_2)
	v_ashrrev_i32_e32 v4, 1, v4
	v_cmp_gt_i32_e32 vcc_lo, s14, v5
	s_delay_alu instid0(VALU_DEP_2) | instskip(SKIP_2) | instid1(VALU_DEP_2)
	v_add3_u32 v4, v6, v3, v4
	v_ashrrev_i32_e32 v3, 31, v2
	s_and_b32 s0, s0, vcc_lo
	v_ashrrev_i32_e32 v5, 31, v4
	s_branch .LBB17_3
.LBB17_2:                               ;   in Loop: Header=BB17_3 Depth=1
	s_wait_xcnt 0x0
	s_or_b32 exec_lo, exec_lo, s1
	s_add_co_i32 s2, s2, 0x10000
	s_delay_alu instid0(SALU_CYCLE_1)
	s_cmp_lt_u32 s2, s7
	s_cbranch_scc0 .LBB17_5
.LBB17_3:                               ; =>This Inner Loop Header: Depth=1
	s_mul_u64 s[12:13], s[10:11], s[2:3]
	s_delay_alu instid0(SALU_CYCLE_1) | instskip(NEXT) | instid1(SALU_CYCLE_1)
	s_lshl_b64 s[12:13], s[12:13], 2
	s_add_nc_u64 s[8:9], s[8:9], s[12:13]
	s_and_saveexec_b32 s1, s0
	s_cbranch_execz .LBB17_2
; %bb.4:                                ;   in Loop: Header=BB17_3 Depth=1
	s_lshl_b64 s[12:13], s[2:3], 3
	s_delay_alu instid0(SALU_CYCLE_1) | instskip(SKIP_3) | instid1(VALU_DEP_1)
	s_add_nc_u64 s[12:13], s[4:5], s[12:13]
	s_load_b64 s[12:13], s[12:13], 0x0
	s_wait_kmcnt 0x0
	v_lshl_add_u64 v[6:7], v[0:1], 2, s[12:13]
	v_lshl_add_u64 v[6:7], v[2:3], 2, v[6:7]
	flat_load_b32 v8, v[6:7]
	s_wait_xcnt 0x0
	v_lshl_add_u64 v[6:7], v[4:5], 2, s[8:9]
	s_wait_loadcnt_dscnt 0x0
	global_store_b32 v[6:7], v8, off
	s_branch .LBB17_2
.LBB17_5:
	s_endpgm
	.section	.rodata,"a",@progbits
	.p2align	6, 0x0
	.amdhsa_kernel _ZL40rocblas_copy_triangular_syrk_herk_kernelILb1ELb0ELb0EfPKPfLi16ELi16EEviT3_ilPT2_i
		.amdhsa_group_segment_fixed_size 0
		.amdhsa_private_segment_fixed_size 0
		.amdhsa_kernarg_size 304
		.amdhsa_user_sgpr_count 2
		.amdhsa_user_sgpr_dispatch_ptr 0
		.amdhsa_user_sgpr_queue_ptr 0
		.amdhsa_user_sgpr_kernarg_segment_ptr 1
		.amdhsa_user_sgpr_dispatch_id 0
		.amdhsa_user_sgpr_kernarg_preload_length 0
		.amdhsa_user_sgpr_kernarg_preload_offset 0
		.amdhsa_user_sgpr_private_segment_size 0
		.amdhsa_wavefront_size32 1
		.amdhsa_uses_dynamic_stack 0
		.amdhsa_enable_private_segment 0
		.amdhsa_system_sgpr_workgroup_id_x 1
		.amdhsa_system_sgpr_workgroup_id_y 1
		.amdhsa_system_sgpr_workgroup_id_z 1
		.amdhsa_system_sgpr_workgroup_info 0
		.amdhsa_system_vgpr_workitem_id 1
		.amdhsa_next_free_vgpr 9
		.amdhsa_next_free_sgpr 20
		.amdhsa_named_barrier_count 0
		.amdhsa_reserve_vcc 1
		.amdhsa_float_round_mode_32 0
		.amdhsa_float_round_mode_16_64 0
		.amdhsa_float_denorm_mode_32 3
		.amdhsa_float_denorm_mode_16_64 3
		.amdhsa_fp16_overflow 0
		.amdhsa_memory_ordered 1
		.amdhsa_forward_progress 1
		.amdhsa_inst_pref_size 5
		.amdhsa_round_robin_scheduling 0
		.amdhsa_exception_fp_ieee_invalid_op 0
		.amdhsa_exception_fp_denorm_src 0
		.amdhsa_exception_fp_ieee_div_zero 0
		.amdhsa_exception_fp_ieee_overflow 0
		.amdhsa_exception_fp_ieee_underflow 0
		.amdhsa_exception_fp_ieee_inexact 0
		.amdhsa_exception_int_div_zero 0
	.end_amdhsa_kernel
	.section	.text._ZL40rocblas_copy_triangular_syrk_herk_kernelILb1ELb0ELb0EfPKPfLi16ELi16EEviT3_ilPT2_i,"axG",@progbits,_ZL40rocblas_copy_triangular_syrk_herk_kernelILb1ELb0ELb0EfPKPfLi16ELi16EEviT3_ilPT2_i,comdat
.Lfunc_end17:
	.size	_ZL40rocblas_copy_triangular_syrk_herk_kernelILb1ELb0ELb0EfPKPfLi16ELi16EEviT3_ilPT2_i, .Lfunc_end17-_ZL40rocblas_copy_triangular_syrk_herk_kernelILb1ELb0ELb0EfPKPfLi16ELi16EEviT3_ilPT2_i
                                        ; -- End function
	.set _ZL40rocblas_copy_triangular_syrk_herk_kernelILb1ELb0ELb0EfPKPfLi16ELi16EEviT3_ilPT2_i.num_vgpr, 9
	.set _ZL40rocblas_copy_triangular_syrk_herk_kernelILb1ELb0ELb0EfPKPfLi16ELi16EEviT3_ilPT2_i.num_agpr, 0
	.set _ZL40rocblas_copy_triangular_syrk_herk_kernelILb1ELb0ELb0EfPKPfLi16ELi16EEviT3_ilPT2_i.numbered_sgpr, 20
	.set _ZL40rocblas_copy_triangular_syrk_herk_kernelILb1ELb0ELb0EfPKPfLi16ELi16EEviT3_ilPT2_i.num_named_barrier, 0
	.set _ZL40rocblas_copy_triangular_syrk_herk_kernelILb1ELb0ELb0EfPKPfLi16ELi16EEviT3_ilPT2_i.private_seg_size, 0
	.set _ZL40rocblas_copy_triangular_syrk_herk_kernelILb1ELb0ELb0EfPKPfLi16ELi16EEviT3_ilPT2_i.uses_vcc, 1
	.set _ZL40rocblas_copy_triangular_syrk_herk_kernelILb1ELb0ELb0EfPKPfLi16ELi16EEviT3_ilPT2_i.uses_flat_scratch, 0
	.set _ZL40rocblas_copy_triangular_syrk_herk_kernelILb1ELb0ELb0EfPKPfLi16ELi16EEviT3_ilPT2_i.has_dyn_sized_stack, 0
	.set _ZL40rocblas_copy_triangular_syrk_herk_kernelILb1ELb0ELb0EfPKPfLi16ELi16EEviT3_ilPT2_i.has_recursion, 0
	.set _ZL40rocblas_copy_triangular_syrk_herk_kernelILb1ELb0ELb0EfPKPfLi16ELi16EEviT3_ilPT2_i.has_indirect_call, 0
	.section	.AMDGPU.csdata,"",@progbits
; Kernel info:
; codeLenInByte = 524
; TotalNumSgprs: 22
; NumVgprs: 9
; ScratchSize: 0
; MemoryBound: 0
; FloatMode: 240
; IeeeMode: 1
; LDSByteSize: 0 bytes/workgroup (compile time only)
; SGPRBlocks: 0
; VGPRBlocks: 0
; NumSGPRsForWavesPerEU: 22
; NumVGPRsForWavesPerEU: 9
; NamedBarCnt: 0
; Occupancy: 16
; WaveLimiterHint : 1
; COMPUTE_PGM_RSRC2:SCRATCH_EN: 0
; COMPUTE_PGM_RSRC2:USER_SGPR: 2
; COMPUTE_PGM_RSRC2:TRAP_HANDLER: 0
; COMPUTE_PGM_RSRC2:TGID_X_EN: 1
; COMPUTE_PGM_RSRC2:TGID_Y_EN: 1
; COMPUTE_PGM_RSRC2:TGID_Z_EN: 1
; COMPUTE_PGM_RSRC2:TIDIG_COMP_CNT: 1
	.section	.text._ZL40rocblas_copy_triangular_syrk_herk_kernelILb0ELb1ELb0EfPKPfLi16ELi16EEviT3_ilPT2_i,"axG",@progbits,_ZL40rocblas_copy_triangular_syrk_herk_kernelILb0ELb1ELb0EfPKPfLi16ELi16EEviT3_ilPT2_i,comdat
	.globl	_ZL40rocblas_copy_triangular_syrk_herk_kernelILb0ELb1ELb0EfPKPfLi16ELi16EEviT3_ilPT2_i ; -- Begin function _ZL40rocblas_copy_triangular_syrk_herk_kernelILb0ELb1ELb0EfPKPfLi16ELi16EEviT3_ilPT2_i
	.p2align	8
	.type	_ZL40rocblas_copy_triangular_syrk_herk_kernelILb0ELb1ELb0EfPKPfLi16ELi16EEviT3_ilPT2_i,@function
_ZL40rocblas_copy_triangular_syrk_herk_kernelILb0ELb1ELb0EfPKPfLi16ELi16EEviT3_ilPT2_i: ; @_ZL40rocblas_copy_triangular_syrk_herk_kernelILb0ELb1ELb0EfPKPfLi16ELi16EEviT3_ilPT2_i
; %bb.0:
	s_load_b32 s7, s[0:1], 0x28
	s_bfe_u32 s2, ttmp6, 0x40014
	s_lshr_b32 s3, ttmp7, 16
	s_add_co_i32 s2, s2, 1
	s_bfe_u32 s4, ttmp6, 0x40008
	s_mul_i32 s2, s3, s2
	s_getreg_b32 s12, hwreg(HW_REG_IB_STS2, 6, 4)
	s_add_co_i32 s4, s4, s2
	s_cmp_eq_u32 s12, 0
	s_cselect_b32 s2, s3, s4
	s_mov_b32 s3, 0
	s_wait_kmcnt 0x0
	s_cmp_ge_u32 s2, s7
	s_cbranch_scc1 .LBB18_5
; %bb.1:
	s_clause 0x3
	s_load_b32 s14, s[0:1], 0x0
	s_load_b96 s[4:6], s[0:1], 0x8
	s_load_b64 s[8:9], s[0:1], 0x20
	s_load_b32 s16, s[0:1], 0x3c
	s_wait_xcnt 0x0
	s_bfe_u32 s0, ttmp6, 0x40010
	s_and_b32 s17, ttmp7, 0xffff
	s_add_co_i32 s0, s0, 1
	s_bfe_u32 s10, ttmp6, 0x40004
	s_bfe_u32 s11, ttmp6, 0x4000c
	s_mul_i32 s0, s17, s0
	s_add_co_i32 s11, s11, 1
	s_add_co_i32 s19, s10, s0
	s_mul_i32 s18, ttmp9, s11
	s_mov_b32 s1, s3
	s_and_b32 s13, ttmp6, 15
	v_bfe_u32 v1, v0, 10, 10
	s_add_co_i32 s18, s13, s18
	v_and_b32_e32 v2, 0x3ff, v0
	s_wait_kmcnt 0x0
	s_add_co_i32 s10, s14, -1
	s_ashr_i32 s15, s14, 31
	s_ashr_i32 s11, s10, 31
	;; [unrolled: 1-line block ×3, first 2 shown]
	s_mul_u64 s[10:11], s[10:11], s[14:15]
	s_lshr_b32 s15, s16, 16
	s_lshr_b32 s0, s11, 31
	s_and_b32 s16, s16, 0xffff
	s_add_nc_u64 s[0:1], s[10:11], s[0:1]
	s_delay_alu instid0(SALU_CYCLE_1) | instskip(SKIP_3) | instid1(SALU_CYCLE_1)
	s_ashr_i64 s[10:11], s[0:1], 1
	s_cmp_eq_u32 s12, 0
	s_mov_b32 s12, s6
	s_cselect_b32 s0, s17, s19
	v_mad_u32 v0, s0, s15, v1
	s_cselect_b32 s0, ttmp9, s18
	s_delay_alu instid0(SALU_CYCLE_1) | instskip(NEXT) | instid1(VALU_DEP_1)
	v_mad_u32 v6, s0, s16, v2
	v_dual_add_nc_u32 v1, -1, v0 :: v_dual_ashrrev_i32 v7, 31, v6
	v_cmp_gt_i32_e32 vcc_lo, v0, v6
	s_delay_alu instid0(VALU_DEP_2) | instskip(SKIP_1) | instid1(VALU_DEP_4)
	v_mul_lo_u32 v1, v1, v0
	v_max_i32_e32 v5, v0, v6
	v_mul_u64_e32 v[2:3], s[12:13], v[6:7]
	s_delay_alu instid0(VALU_DEP_2) | instskip(NEXT) | instid1(VALU_DEP_4)
	v_cmp_gt_i32_e64 s0, s14, v5
	v_lshrrev_b32_e32 v4, 31, v1
	s_and_b32 s0, vcc_lo, s0
	s_delay_alu instid0(VALU_DEP_1) | instskip(NEXT) | instid1(VALU_DEP_1)
	v_add_nc_u32_e32 v1, v1, v4
	v_ashrrev_i32_e32 v1, 1, v1
	s_delay_alu instid0(VALU_DEP_1) | instskip(NEXT) | instid1(VALU_DEP_1)
	v_dual_add_nc_u32 v4, v1, v6 :: v_dual_ashrrev_i32 v1, 31, v0
	v_ashrrev_i32_e32 v5, 31, v4
	s_branch .LBB18_3
.LBB18_2:                               ;   in Loop: Header=BB18_3 Depth=1
	s_wait_xcnt 0x0
	s_or_b32 exec_lo, exec_lo, s1
	s_add_co_i32 s2, s2, 0x10000
	s_delay_alu instid0(SALU_CYCLE_1)
	s_cmp_lt_u32 s2, s7
	s_cbranch_scc0 .LBB18_5
.LBB18_3:                               ; =>This Inner Loop Header: Depth=1
	s_mul_u64 s[12:13], s[10:11], s[2:3]
	s_delay_alu instid0(SALU_CYCLE_1) | instskip(NEXT) | instid1(SALU_CYCLE_1)
	s_lshl_b64 s[12:13], s[12:13], 2
	s_add_nc_u64 s[8:9], s[8:9], s[12:13]
	s_and_saveexec_b32 s1, s0
	s_cbranch_execz .LBB18_2
; %bb.4:                                ;   in Loop: Header=BB18_3 Depth=1
	v_lshl_add_u64 v[6:7], v[4:5], 2, s[8:9]
	s_lshl_b64 s[12:13], s[2:3], 3
	s_delay_alu instid0(SALU_CYCLE_1)
	s_add_nc_u64 s[12:13], s[4:5], s[12:13]
	s_load_b64 s[12:13], s[12:13], 0x0
	global_load_b32 v8, v[6:7], off
	s_wait_kmcnt 0x0
	s_wait_xcnt 0x0
	v_lshl_add_u64 v[6:7], v[2:3], 2, s[12:13]
	s_delay_alu instid0(VALU_DEP_1)
	v_lshl_add_u64 v[6:7], v[0:1], 2, v[6:7]
	s_wait_loadcnt 0x0
	flat_store_b32 v[6:7], v8
	s_branch .LBB18_2
.LBB18_5:
	s_endpgm
	.section	.rodata,"a",@progbits
	.p2align	6, 0x0
	.amdhsa_kernel _ZL40rocblas_copy_triangular_syrk_herk_kernelILb0ELb1ELb0EfPKPfLi16ELi16EEviT3_ilPT2_i
		.amdhsa_group_segment_fixed_size 0
		.amdhsa_private_segment_fixed_size 0
		.amdhsa_kernarg_size 304
		.amdhsa_user_sgpr_count 2
		.amdhsa_user_sgpr_dispatch_ptr 0
		.amdhsa_user_sgpr_queue_ptr 0
		.amdhsa_user_sgpr_kernarg_segment_ptr 1
		.amdhsa_user_sgpr_dispatch_id 0
		.amdhsa_user_sgpr_kernarg_preload_length 0
		.amdhsa_user_sgpr_kernarg_preload_offset 0
		.amdhsa_user_sgpr_private_segment_size 0
		.amdhsa_wavefront_size32 1
		.amdhsa_uses_dynamic_stack 0
		.amdhsa_enable_private_segment 0
		.amdhsa_system_sgpr_workgroup_id_x 1
		.amdhsa_system_sgpr_workgroup_id_y 1
		.amdhsa_system_sgpr_workgroup_id_z 1
		.amdhsa_system_sgpr_workgroup_info 0
		.amdhsa_system_vgpr_workitem_id 1
		.amdhsa_next_free_vgpr 9
		.amdhsa_next_free_sgpr 20
		.amdhsa_named_barrier_count 0
		.amdhsa_reserve_vcc 1
		.amdhsa_float_round_mode_32 0
		.amdhsa_float_round_mode_16_64 0
		.amdhsa_float_denorm_mode_32 3
		.amdhsa_float_denorm_mode_16_64 3
		.amdhsa_fp16_overflow 0
		.amdhsa_memory_ordered 1
		.amdhsa_forward_progress 1
		.amdhsa_inst_pref_size 4
		.amdhsa_round_robin_scheduling 0
		.amdhsa_exception_fp_ieee_invalid_op 0
		.amdhsa_exception_fp_denorm_src 0
		.amdhsa_exception_fp_ieee_div_zero 0
		.amdhsa_exception_fp_ieee_overflow 0
		.amdhsa_exception_fp_ieee_underflow 0
		.amdhsa_exception_fp_ieee_inexact 0
		.amdhsa_exception_int_div_zero 0
	.end_amdhsa_kernel
	.section	.text._ZL40rocblas_copy_triangular_syrk_herk_kernelILb0ELb1ELb0EfPKPfLi16ELi16EEviT3_ilPT2_i,"axG",@progbits,_ZL40rocblas_copy_triangular_syrk_herk_kernelILb0ELb1ELb0EfPKPfLi16ELi16EEviT3_ilPT2_i,comdat
.Lfunc_end18:
	.size	_ZL40rocblas_copy_triangular_syrk_herk_kernelILb0ELb1ELb0EfPKPfLi16ELi16EEviT3_ilPT2_i, .Lfunc_end18-_ZL40rocblas_copy_triangular_syrk_herk_kernelILb0ELb1ELb0EfPKPfLi16ELi16EEviT3_ilPT2_i
                                        ; -- End function
	.set _ZL40rocblas_copy_triangular_syrk_herk_kernelILb0ELb1ELb0EfPKPfLi16ELi16EEviT3_ilPT2_i.num_vgpr, 9
	.set _ZL40rocblas_copy_triangular_syrk_herk_kernelILb0ELb1ELb0EfPKPfLi16ELi16EEviT3_ilPT2_i.num_agpr, 0
	.set _ZL40rocblas_copy_triangular_syrk_herk_kernelILb0ELb1ELb0EfPKPfLi16ELi16EEviT3_ilPT2_i.numbered_sgpr, 20
	.set _ZL40rocblas_copy_triangular_syrk_herk_kernelILb0ELb1ELb0EfPKPfLi16ELi16EEviT3_ilPT2_i.num_named_barrier, 0
	.set _ZL40rocblas_copy_triangular_syrk_herk_kernelILb0ELb1ELb0EfPKPfLi16ELi16EEviT3_ilPT2_i.private_seg_size, 0
	.set _ZL40rocblas_copy_triangular_syrk_herk_kernelILb0ELb1ELb0EfPKPfLi16ELi16EEviT3_ilPT2_i.uses_vcc, 1
	.set _ZL40rocblas_copy_triangular_syrk_herk_kernelILb0ELb1ELb0EfPKPfLi16ELi16EEviT3_ilPT2_i.uses_flat_scratch, 0
	.set _ZL40rocblas_copy_triangular_syrk_herk_kernelILb0ELb1ELb0EfPKPfLi16ELi16EEviT3_ilPT2_i.has_dyn_sized_stack, 0
	.set _ZL40rocblas_copy_triangular_syrk_herk_kernelILb0ELb1ELb0EfPKPfLi16ELi16EEviT3_ilPT2_i.has_recursion, 0
	.set _ZL40rocblas_copy_triangular_syrk_herk_kernelILb0ELb1ELb0EfPKPfLi16ELi16EEviT3_ilPT2_i.has_indirect_call, 0
	.section	.AMDGPU.csdata,"",@progbits
; Kernel info:
; codeLenInByte = 512
; TotalNumSgprs: 22
; NumVgprs: 9
; ScratchSize: 0
; MemoryBound: 0
; FloatMode: 240
; IeeeMode: 1
; LDSByteSize: 0 bytes/workgroup (compile time only)
; SGPRBlocks: 0
; VGPRBlocks: 0
; NumSGPRsForWavesPerEU: 22
; NumVGPRsForWavesPerEU: 9
; NamedBarCnt: 0
; Occupancy: 16
; WaveLimiterHint : 1
; COMPUTE_PGM_RSRC2:SCRATCH_EN: 0
; COMPUTE_PGM_RSRC2:USER_SGPR: 2
; COMPUTE_PGM_RSRC2:TRAP_HANDLER: 0
; COMPUTE_PGM_RSRC2:TGID_X_EN: 1
; COMPUTE_PGM_RSRC2:TGID_Y_EN: 1
; COMPUTE_PGM_RSRC2:TGID_Z_EN: 1
; COMPUTE_PGM_RSRC2:TIDIG_COMP_CNT: 1
	.section	.text._ZL40rocblas_copy_triangular_syrk_herk_kernelILb0ELb0ELb0EfPKPfLi16ELi16EEviT3_ilPT2_i,"axG",@progbits,_ZL40rocblas_copy_triangular_syrk_herk_kernelILb0ELb0ELb0EfPKPfLi16ELi16EEviT3_ilPT2_i,comdat
	.globl	_ZL40rocblas_copy_triangular_syrk_herk_kernelILb0ELb0ELb0EfPKPfLi16ELi16EEviT3_ilPT2_i ; -- Begin function _ZL40rocblas_copy_triangular_syrk_herk_kernelILb0ELb0ELb0EfPKPfLi16ELi16EEviT3_ilPT2_i
	.p2align	8
	.type	_ZL40rocblas_copy_triangular_syrk_herk_kernelILb0ELb0ELb0EfPKPfLi16ELi16EEviT3_ilPT2_i,@function
_ZL40rocblas_copy_triangular_syrk_herk_kernelILb0ELb0ELb0EfPKPfLi16ELi16EEviT3_ilPT2_i: ; @_ZL40rocblas_copy_triangular_syrk_herk_kernelILb0ELb0ELb0EfPKPfLi16ELi16EEviT3_ilPT2_i
; %bb.0:
	s_load_b32 s7, s[0:1], 0x28
	s_bfe_u32 s2, ttmp6, 0x40014
	s_lshr_b32 s3, ttmp7, 16
	s_add_co_i32 s2, s2, 1
	s_bfe_u32 s4, ttmp6, 0x40008
	s_mul_i32 s2, s3, s2
	s_getreg_b32 s12, hwreg(HW_REG_IB_STS2, 6, 4)
	s_add_co_i32 s4, s4, s2
	s_cmp_eq_u32 s12, 0
	s_cselect_b32 s2, s3, s4
	s_mov_b32 s3, 0
	s_wait_kmcnt 0x0
	s_cmp_ge_u32 s2, s7
	s_cbranch_scc1 .LBB19_5
; %bb.1:
	s_clause 0x3
	s_load_b32 s14, s[0:1], 0x0
	s_load_b96 s[4:6], s[0:1], 0x8
	s_load_b64 s[8:9], s[0:1], 0x20
	s_load_b32 s16, s[0:1], 0x3c
	s_wait_xcnt 0x0
	s_bfe_u32 s0, ttmp6, 0x40010
	s_and_b32 s17, ttmp7, 0xffff
	s_add_co_i32 s0, s0, 1
	s_bfe_u32 s10, ttmp6, 0x40004
	s_bfe_u32 s11, ttmp6, 0x4000c
	s_mul_i32 s0, s17, s0
	s_add_co_i32 s11, s11, 1
	s_add_co_i32 s19, s10, s0
	s_mul_i32 s18, ttmp9, s11
	s_mov_b32 s1, s3
	s_and_b32 s13, ttmp6, 15
	v_bfe_u32 v1, v0, 10, 10
	s_add_co_i32 s18, s13, s18
	v_and_b32_e32 v0, 0x3ff, v0
	s_wait_kmcnt 0x0
	s_add_co_i32 s10, s14, -1
	s_ashr_i32 s15, s14, 31
	s_ashr_i32 s11, s10, 31
	;; [unrolled: 1-line block ×3, first 2 shown]
	s_mul_u64 s[10:11], s[10:11], s[14:15]
	s_lshr_b32 s15, s16, 16
	s_lshr_b32 s0, s11, 31
	s_and_b32 s16, s16, 0xffff
	s_add_nc_u64 s[0:1], s[10:11], s[0:1]
	s_delay_alu instid0(SALU_CYCLE_1) | instskip(SKIP_3) | instid1(SALU_CYCLE_1)
	s_ashr_i64 s[10:11], s[0:1], 1
	s_cmp_eq_u32 s12, 0
	s_mov_b32 s12, s6
	s_cselect_b32 s0, s17, s19
	v_mad_u32 v2, s0, s15, v1
	s_cselect_b32 s0, ttmp9, s18
	s_delay_alu instid0(SALU_CYCLE_1) | instskip(NEXT) | instid1(VALU_DEP_2)
	v_mad_u32 v6, s0, s16, v0
	v_not_b32_e32 v3, v2
	s_delay_alu instid0(VALU_DEP_2) | instskip(NEXT) | instid1(VALU_DEP_2)
	v_cmp_lt_i32_e32 vcc_lo, v2, v6
	v_lshl_add_u32 v0, s14, 1, v3
	s_delay_alu instid0(VALU_DEP_1) | instskip(NEXT) | instid1(VALU_DEP_1)
	v_mul_lo_u32 v4, v0, v2
	v_dual_ashrrev_i32 v7, 31, v6 :: v_dual_lshrrev_b32 v5, 31, v4
	s_delay_alu instid0(VALU_DEP_1) | instskip(NEXT) | instid1(VALU_DEP_2)
	v_mul_u64_e32 v[0:1], s[12:13], v[6:7]
	v_dual_add_nc_u32 v4, v4, v5 :: v_dual_max_i32 v5, v2, v6
	s_delay_alu instid0(VALU_DEP_1) | instskip(NEXT) | instid1(VALU_DEP_2)
	v_ashrrev_i32_e32 v4, 1, v4
	v_cmp_gt_i32_e64 s0, s14, v5
	s_delay_alu instid0(VALU_DEP_2) | instskip(SKIP_2) | instid1(VALU_DEP_2)
	v_add3_u32 v4, v6, v3, v4
	v_ashrrev_i32_e32 v3, 31, v2
	s_and_b32 s0, vcc_lo, s0
	v_ashrrev_i32_e32 v5, 31, v4
	s_branch .LBB19_3
.LBB19_2:                               ;   in Loop: Header=BB19_3 Depth=1
	s_wait_xcnt 0x0
	s_or_b32 exec_lo, exec_lo, s1
	s_add_co_i32 s2, s2, 0x10000
	s_delay_alu instid0(SALU_CYCLE_1)
	s_cmp_lt_u32 s2, s7
	s_cbranch_scc0 .LBB19_5
.LBB19_3:                               ; =>This Inner Loop Header: Depth=1
	s_mul_u64 s[12:13], s[10:11], s[2:3]
	s_delay_alu instid0(SALU_CYCLE_1) | instskip(NEXT) | instid1(SALU_CYCLE_1)
	s_lshl_b64 s[12:13], s[12:13], 2
	s_add_nc_u64 s[8:9], s[8:9], s[12:13]
	s_and_saveexec_b32 s1, s0
	s_cbranch_execz .LBB19_2
; %bb.4:                                ;   in Loop: Header=BB19_3 Depth=1
	v_lshl_add_u64 v[6:7], v[4:5], 2, s[8:9]
	s_lshl_b64 s[12:13], s[2:3], 3
	s_delay_alu instid0(SALU_CYCLE_1)
	s_add_nc_u64 s[12:13], s[4:5], s[12:13]
	s_load_b64 s[12:13], s[12:13], 0x0
	global_load_b32 v8, v[6:7], off
	s_wait_kmcnt 0x0
	s_wait_xcnt 0x0
	v_lshl_add_u64 v[6:7], v[0:1], 2, s[12:13]
	s_delay_alu instid0(VALU_DEP_1)
	v_lshl_add_u64 v[6:7], v[2:3], 2, v[6:7]
	s_wait_loadcnt 0x0
	flat_store_b32 v[6:7], v8
	s_branch .LBB19_2
.LBB19_5:
	s_endpgm
	.section	.rodata,"a",@progbits
	.p2align	6, 0x0
	.amdhsa_kernel _ZL40rocblas_copy_triangular_syrk_herk_kernelILb0ELb0ELb0EfPKPfLi16ELi16EEviT3_ilPT2_i
		.amdhsa_group_segment_fixed_size 0
		.amdhsa_private_segment_fixed_size 0
		.amdhsa_kernarg_size 304
		.amdhsa_user_sgpr_count 2
		.amdhsa_user_sgpr_dispatch_ptr 0
		.amdhsa_user_sgpr_queue_ptr 0
		.amdhsa_user_sgpr_kernarg_segment_ptr 1
		.amdhsa_user_sgpr_dispatch_id 0
		.amdhsa_user_sgpr_kernarg_preload_length 0
		.amdhsa_user_sgpr_kernarg_preload_offset 0
		.amdhsa_user_sgpr_private_segment_size 0
		.amdhsa_wavefront_size32 1
		.amdhsa_uses_dynamic_stack 0
		.amdhsa_enable_private_segment 0
		.amdhsa_system_sgpr_workgroup_id_x 1
		.amdhsa_system_sgpr_workgroup_id_y 1
		.amdhsa_system_sgpr_workgroup_id_z 1
		.amdhsa_system_sgpr_workgroup_info 0
		.amdhsa_system_vgpr_workitem_id 1
		.amdhsa_next_free_vgpr 9
		.amdhsa_next_free_sgpr 20
		.amdhsa_named_barrier_count 0
		.amdhsa_reserve_vcc 1
		.amdhsa_float_round_mode_32 0
		.amdhsa_float_round_mode_16_64 0
		.amdhsa_float_denorm_mode_32 3
		.amdhsa_float_denorm_mode_16_64 3
		.amdhsa_fp16_overflow 0
		.amdhsa_memory_ordered 1
		.amdhsa_forward_progress 1
		.amdhsa_inst_pref_size 5
		.amdhsa_round_robin_scheduling 0
		.amdhsa_exception_fp_ieee_invalid_op 0
		.amdhsa_exception_fp_denorm_src 0
		.amdhsa_exception_fp_ieee_div_zero 0
		.amdhsa_exception_fp_ieee_overflow 0
		.amdhsa_exception_fp_ieee_underflow 0
		.amdhsa_exception_fp_ieee_inexact 0
		.amdhsa_exception_int_div_zero 0
	.end_amdhsa_kernel
	.section	.text._ZL40rocblas_copy_triangular_syrk_herk_kernelILb0ELb0ELb0EfPKPfLi16ELi16EEviT3_ilPT2_i,"axG",@progbits,_ZL40rocblas_copy_triangular_syrk_herk_kernelILb0ELb0ELb0EfPKPfLi16ELi16EEviT3_ilPT2_i,comdat
.Lfunc_end19:
	.size	_ZL40rocblas_copy_triangular_syrk_herk_kernelILb0ELb0ELb0EfPKPfLi16ELi16EEviT3_ilPT2_i, .Lfunc_end19-_ZL40rocblas_copy_triangular_syrk_herk_kernelILb0ELb0ELb0EfPKPfLi16ELi16EEviT3_ilPT2_i
                                        ; -- End function
	.set _ZL40rocblas_copy_triangular_syrk_herk_kernelILb0ELb0ELb0EfPKPfLi16ELi16EEviT3_ilPT2_i.num_vgpr, 9
	.set _ZL40rocblas_copy_triangular_syrk_herk_kernelILb0ELb0ELb0EfPKPfLi16ELi16EEviT3_ilPT2_i.num_agpr, 0
	.set _ZL40rocblas_copy_triangular_syrk_herk_kernelILb0ELb0ELb0EfPKPfLi16ELi16EEviT3_ilPT2_i.numbered_sgpr, 20
	.set _ZL40rocblas_copy_triangular_syrk_herk_kernelILb0ELb0ELb0EfPKPfLi16ELi16EEviT3_ilPT2_i.num_named_barrier, 0
	.set _ZL40rocblas_copy_triangular_syrk_herk_kernelILb0ELb0ELb0EfPKPfLi16ELi16EEviT3_ilPT2_i.private_seg_size, 0
	.set _ZL40rocblas_copy_triangular_syrk_herk_kernelILb0ELb0ELb0EfPKPfLi16ELi16EEviT3_ilPT2_i.uses_vcc, 1
	.set _ZL40rocblas_copy_triangular_syrk_herk_kernelILb0ELb0ELb0EfPKPfLi16ELi16EEviT3_ilPT2_i.uses_flat_scratch, 0
	.set _ZL40rocblas_copy_triangular_syrk_herk_kernelILb0ELb0ELb0EfPKPfLi16ELi16EEviT3_ilPT2_i.has_dyn_sized_stack, 0
	.set _ZL40rocblas_copy_triangular_syrk_herk_kernelILb0ELb0ELb0EfPKPfLi16ELi16EEviT3_ilPT2_i.has_recursion, 0
	.set _ZL40rocblas_copy_triangular_syrk_herk_kernelILb0ELb0ELb0EfPKPfLi16ELi16EEviT3_ilPT2_i.has_indirect_call, 0
	.section	.AMDGPU.csdata,"",@progbits
; Kernel info:
; codeLenInByte = 528
; TotalNumSgprs: 22
; NumVgprs: 9
; ScratchSize: 0
; MemoryBound: 0
; FloatMode: 240
; IeeeMode: 1
; LDSByteSize: 0 bytes/workgroup (compile time only)
; SGPRBlocks: 0
; VGPRBlocks: 0
; NumSGPRsForWavesPerEU: 22
; NumVGPRsForWavesPerEU: 9
; NamedBarCnt: 0
; Occupancy: 16
; WaveLimiterHint : 1
; COMPUTE_PGM_RSRC2:SCRATCH_EN: 0
; COMPUTE_PGM_RSRC2:USER_SGPR: 2
; COMPUTE_PGM_RSRC2:TRAP_HANDLER: 0
; COMPUTE_PGM_RSRC2:TGID_X_EN: 1
; COMPUTE_PGM_RSRC2:TGID_Y_EN: 1
; COMPUTE_PGM_RSRC2:TGID_Z_EN: 1
; COMPUTE_PGM_RSRC2:TIDIG_COMP_CNT: 1
	.section	.text._ZL40rocblas_copy_triangular_syrk_herk_kernelILb1ELb1ELb0EdPKPdLi16ELi16EEviT3_ilPT2_i,"axG",@progbits,_ZL40rocblas_copy_triangular_syrk_herk_kernelILb1ELb1ELb0EdPKPdLi16ELi16EEviT3_ilPT2_i,comdat
	.globl	_ZL40rocblas_copy_triangular_syrk_herk_kernelILb1ELb1ELb0EdPKPdLi16ELi16EEviT3_ilPT2_i ; -- Begin function _ZL40rocblas_copy_triangular_syrk_herk_kernelILb1ELb1ELb0EdPKPdLi16ELi16EEviT3_ilPT2_i
	.p2align	8
	.type	_ZL40rocblas_copy_triangular_syrk_herk_kernelILb1ELb1ELb0EdPKPdLi16ELi16EEviT3_ilPT2_i,@function
_ZL40rocblas_copy_triangular_syrk_herk_kernelILb1ELb1ELb0EdPKPdLi16ELi16EEviT3_ilPT2_i: ; @_ZL40rocblas_copy_triangular_syrk_herk_kernelILb1ELb1ELb0EdPKPdLi16ELi16EEviT3_ilPT2_i
; %bb.0:
	s_load_b32 s7, s[0:1], 0x28
	s_bfe_u32 s2, ttmp6, 0x40014
	s_lshr_b32 s3, ttmp7, 16
	s_add_co_i32 s2, s2, 1
	s_bfe_u32 s4, ttmp6, 0x40008
	s_mul_i32 s2, s3, s2
	s_getreg_b32 s12, hwreg(HW_REG_IB_STS2, 6, 4)
	s_add_co_i32 s4, s4, s2
	s_cmp_eq_u32 s12, 0
	s_cselect_b32 s2, s3, s4
	s_mov_b32 s3, 0
	s_wait_kmcnt 0x0
	s_cmp_ge_u32 s2, s7
	s_cbranch_scc1 .LBB20_5
; %bb.1:
	s_clause 0x3
	s_load_b32 s14, s[0:1], 0x0
	s_load_b96 s[4:6], s[0:1], 0x8
	s_load_b32 s16, s[0:1], 0x3c
	s_load_b64 s[8:9], s[0:1], 0x20
	s_wait_xcnt 0x0
	s_bfe_u32 s0, ttmp6, 0x40010
	s_and_b32 s17, ttmp7, 0xffff
	s_add_co_i32 s0, s0, 1
	s_bfe_u32 s10, ttmp6, 0x40004
	s_bfe_u32 s11, ttmp6, 0x4000c
	s_mul_i32 s0, s17, s0
	s_add_co_i32 s11, s11, 1
	s_add_co_i32 s19, s10, s0
	s_mul_i32 s18, ttmp9, s11
	s_mov_b32 s1, s3
	s_and_b32 s13, ttmp6, 15
	v_bfe_u32 v1, v0, 10, 10
	s_add_co_i32 s18, s13, s18
	v_and_b32_e32 v2, 0x3ff, v0
	s_wait_kmcnt 0x0
	s_add_co_i32 s10, s14, -1
	s_ashr_i32 s15, s14, 31
	s_ashr_i32 s11, s10, 31
	;; [unrolled: 1-line block ×3, first 2 shown]
	s_mul_u64 s[10:11], s[10:11], s[14:15]
	s_lshr_b32 s15, s16, 16
	s_lshr_b32 s0, s11, 31
	s_and_b32 s16, s16, 0xffff
	s_add_nc_u64 s[0:1], s[10:11], s[0:1]
	s_delay_alu instid0(SALU_CYCLE_1) | instskip(SKIP_3) | instid1(SALU_CYCLE_1)
	s_ashr_i64 s[10:11], s[0:1], 1
	s_cmp_eq_u32 s12, 0
	s_mov_b32 s12, s6
	s_cselect_b32 s0, s17, s19
	v_mad_u32 v0, s0, s15, v1
	s_cselect_b32 s0, ttmp9, s18
	s_delay_alu instid0(SALU_CYCLE_1) | instskip(NEXT) | instid1(VALU_DEP_1)
	v_mad_u32 v6, s0, s16, v2
	v_dual_add_nc_u32 v1, -1, v0 :: v_dual_ashrrev_i32 v7, 31, v6
	v_cmp_gt_i32_e64 s0, v0, v6
	s_delay_alu instid0(VALU_DEP_2) | instskip(SKIP_1) | instid1(VALU_DEP_4)
	v_mul_lo_u32 v1, v1, v0
	v_max_i32_e32 v5, v0, v6
	v_mul_u64_e32 v[2:3], s[12:13], v[6:7]
	s_delay_alu instid0(VALU_DEP_2) | instskip(NEXT) | instid1(VALU_DEP_4)
	v_cmp_gt_i32_e32 vcc_lo, s14, v5
	v_lshrrev_b32_e32 v4, 31, v1
	s_and_b32 s0, s0, vcc_lo
	s_delay_alu instid0(VALU_DEP_1) | instskip(NEXT) | instid1(VALU_DEP_1)
	v_add_nc_u32_e32 v1, v1, v4
	v_ashrrev_i32_e32 v1, 1, v1
	s_delay_alu instid0(VALU_DEP_1) | instskip(NEXT) | instid1(VALU_DEP_1)
	v_dual_add_nc_u32 v4, v1, v6 :: v_dual_ashrrev_i32 v1, 31, v0
	v_ashrrev_i32_e32 v5, 31, v4
	s_branch .LBB20_3
.LBB20_2:                               ;   in Loop: Header=BB20_3 Depth=1
	s_wait_xcnt 0x0
	s_or_b32 exec_lo, exec_lo, s1
	s_add_co_i32 s2, s2, 0x10000
	s_delay_alu instid0(SALU_CYCLE_1)
	s_cmp_lt_u32 s2, s7
	s_cbranch_scc0 .LBB20_5
.LBB20_3:                               ; =>This Inner Loop Header: Depth=1
	s_mul_u64 s[12:13], s[10:11], s[2:3]
	s_delay_alu instid0(SALU_CYCLE_1) | instskip(NEXT) | instid1(SALU_CYCLE_1)
	s_lshl_b64 s[12:13], s[12:13], 3
	s_add_nc_u64 s[8:9], s[8:9], s[12:13]
	s_and_saveexec_b32 s1, s0
	s_cbranch_execz .LBB20_2
; %bb.4:                                ;   in Loop: Header=BB20_3 Depth=1
	s_lshl_b64 s[12:13], s[2:3], 3
	v_lshl_add_u64 v[8:9], v[4:5], 3, s[8:9]
	s_add_nc_u64 s[12:13], s[4:5], s[12:13]
	s_load_b64 s[12:13], s[12:13], 0x0
	s_wait_kmcnt 0x0
	v_lshl_add_u64 v[6:7], v[2:3], 3, s[12:13]
	s_delay_alu instid0(VALU_DEP_1)
	v_lshl_add_u64 v[6:7], v[0:1], 3, v[6:7]
	flat_load_b64 v[6:7], v[6:7]
	s_wait_loadcnt_dscnt 0x0
	global_store_b64 v[8:9], v[6:7], off
	s_branch .LBB20_2
.LBB20_5:
	s_endpgm
	.section	.rodata,"a",@progbits
	.p2align	6, 0x0
	.amdhsa_kernel _ZL40rocblas_copy_triangular_syrk_herk_kernelILb1ELb1ELb0EdPKPdLi16ELi16EEviT3_ilPT2_i
		.amdhsa_group_segment_fixed_size 0
		.amdhsa_private_segment_fixed_size 0
		.amdhsa_kernarg_size 304
		.amdhsa_user_sgpr_count 2
		.amdhsa_user_sgpr_dispatch_ptr 0
		.amdhsa_user_sgpr_queue_ptr 0
		.amdhsa_user_sgpr_kernarg_segment_ptr 1
		.amdhsa_user_sgpr_dispatch_id 0
		.amdhsa_user_sgpr_kernarg_preload_length 0
		.amdhsa_user_sgpr_kernarg_preload_offset 0
		.amdhsa_user_sgpr_private_segment_size 0
		.amdhsa_wavefront_size32 1
		.amdhsa_uses_dynamic_stack 0
		.amdhsa_enable_private_segment 0
		.amdhsa_system_sgpr_workgroup_id_x 1
		.amdhsa_system_sgpr_workgroup_id_y 1
		.amdhsa_system_sgpr_workgroup_id_z 1
		.amdhsa_system_sgpr_workgroup_info 0
		.amdhsa_system_vgpr_workitem_id 1
		.amdhsa_next_free_vgpr 10
		.amdhsa_next_free_sgpr 20
		.amdhsa_named_barrier_count 0
		.amdhsa_reserve_vcc 1
		.amdhsa_float_round_mode_32 0
		.amdhsa_float_round_mode_16_64 0
		.amdhsa_float_denorm_mode_32 3
		.amdhsa_float_denorm_mode_16_64 3
		.amdhsa_fp16_overflow 0
		.amdhsa_memory_ordered 1
		.amdhsa_forward_progress 1
		.amdhsa_inst_pref_size 4
		.amdhsa_round_robin_scheduling 0
		.amdhsa_exception_fp_ieee_invalid_op 0
		.amdhsa_exception_fp_denorm_src 0
		.amdhsa_exception_fp_ieee_div_zero 0
		.amdhsa_exception_fp_ieee_overflow 0
		.amdhsa_exception_fp_ieee_underflow 0
		.amdhsa_exception_fp_ieee_inexact 0
		.amdhsa_exception_int_div_zero 0
	.end_amdhsa_kernel
	.section	.text._ZL40rocblas_copy_triangular_syrk_herk_kernelILb1ELb1ELb0EdPKPdLi16ELi16EEviT3_ilPT2_i,"axG",@progbits,_ZL40rocblas_copy_triangular_syrk_herk_kernelILb1ELb1ELb0EdPKPdLi16ELi16EEviT3_ilPT2_i,comdat
.Lfunc_end20:
	.size	_ZL40rocblas_copy_triangular_syrk_herk_kernelILb1ELb1ELb0EdPKPdLi16ELi16EEviT3_ilPT2_i, .Lfunc_end20-_ZL40rocblas_copy_triangular_syrk_herk_kernelILb1ELb1ELb0EdPKPdLi16ELi16EEviT3_ilPT2_i
                                        ; -- End function
	.set _ZL40rocblas_copy_triangular_syrk_herk_kernelILb1ELb1ELb0EdPKPdLi16ELi16EEviT3_ilPT2_i.num_vgpr, 10
	.set _ZL40rocblas_copy_triangular_syrk_herk_kernelILb1ELb1ELb0EdPKPdLi16ELi16EEviT3_ilPT2_i.num_agpr, 0
	.set _ZL40rocblas_copy_triangular_syrk_herk_kernelILb1ELb1ELb0EdPKPdLi16ELi16EEviT3_ilPT2_i.numbered_sgpr, 20
	.set _ZL40rocblas_copy_triangular_syrk_herk_kernelILb1ELb1ELb0EdPKPdLi16ELi16EEviT3_ilPT2_i.num_named_barrier, 0
	.set _ZL40rocblas_copy_triangular_syrk_herk_kernelILb1ELb1ELb0EdPKPdLi16ELi16EEviT3_ilPT2_i.private_seg_size, 0
	.set _ZL40rocblas_copy_triangular_syrk_herk_kernelILb1ELb1ELb0EdPKPdLi16ELi16EEviT3_ilPT2_i.uses_vcc, 1
	.set _ZL40rocblas_copy_triangular_syrk_herk_kernelILb1ELb1ELb0EdPKPdLi16ELi16EEviT3_ilPT2_i.uses_flat_scratch, 0
	.set _ZL40rocblas_copy_triangular_syrk_herk_kernelILb1ELb1ELb0EdPKPdLi16ELi16EEviT3_ilPT2_i.has_dyn_sized_stack, 0
	.set _ZL40rocblas_copy_triangular_syrk_herk_kernelILb1ELb1ELb0EdPKPdLi16ELi16EEviT3_ilPT2_i.has_recursion, 0
	.set _ZL40rocblas_copy_triangular_syrk_herk_kernelILb1ELb1ELb0EdPKPdLi16ELi16EEviT3_ilPT2_i.has_indirect_call, 0
	.section	.AMDGPU.csdata,"",@progbits
; Kernel info:
; codeLenInByte = 504
; TotalNumSgprs: 22
; NumVgprs: 10
; ScratchSize: 0
; MemoryBound: 0
; FloatMode: 240
; IeeeMode: 1
; LDSByteSize: 0 bytes/workgroup (compile time only)
; SGPRBlocks: 0
; VGPRBlocks: 0
; NumSGPRsForWavesPerEU: 22
; NumVGPRsForWavesPerEU: 10
; NamedBarCnt: 0
; Occupancy: 16
; WaveLimiterHint : 1
; COMPUTE_PGM_RSRC2:SCRATCH_EN: 0
; COMPUTE_PGM_RSRC2:USER_SGPR: 2
; COMPUTE_PGM_RSRC2:TRAP_HANDLER: 0
; COMPUTE_PGM_RSRC2:TGID_X_EN: 1
; COMPUTE_PGM_RSRC2:TGID_Y_EN: 1
; COMPUTE_PGM_RSRC2:TGID_Z_EN: 1
; COMPUTE_PGM_RSRC2:TIDIG_COMP_CNT: 1
	.section	.text._ZL40rocblas_copy_triangular_syrk_herk_kernelILb1ELb0ELb0EdPKPdLi16ELi16EEviT3_ilPT2_i,"axG",@progbits,_ZL40rocblas_copy_triangular_syrk_herk_kernelILb1ELb0ELb0EdPKPdLi16ELi16EEviT3_ilPT2_i,comdat
	.globl	_ZL40rocblas_copy_triangular_syrk_herk_kernelILb1ELb0ELb0EdPKPdLi16ELi16EEviT3_ilPT2_i ; -- Begin function _ZL40rocblas_copy_triangular_syrk_herk_kernelILb1ELb0ELb0EdPKPdLi16ELi16EEviT3_ilPT2_i
	.p2align	8
	.type	_ZL40rocblas_copy_triangular_syrk_herk_kernelILb1ELb0ELb0EdPKPdLi16ELi16EEviT3_ilPT2_i,@function
_ZL40rocblas_copy_triangular_syrk_herk_kernelILb1ELb0ELb0EdPKPdLi16ELi16EEviT3_ilPT2_i: ; @_ZL40rocblas_copy_triangular_syrk_herk_kernelILb1ELb0ELb0EdPKPdLi16ELi16EEviT3_ilPT2_i
; %bb.0:
	s_load_b32 s7, s[0:1], 0x28
	s_bfe_u32 s2, ttmp6, 0x40014
	s_lshr_b32 s3, ttmp7, 16
	s_add_co_i32 s2, s2, 1
	s_bfe_u32 s4, ttmp6, 0x40008
	s_mul_i32 s2, s3, s2
	s_getreg_b32 s12, hwreg(HW_REG_IB_STS2, 6, 4)
	s_add_co_i32 s4, s4, s2
	s_cmp_eq_u32 s12, 0
	s_cselect_b32 s2, s3, s4
	s_mov_b32 s3, 0
	s_wait_kmcnt 0x0
	s_cmp_ge_u32 s2, s7
	s_cbranch_scc1 .LBB21_5
; %bb.1:
	s_clause 0x3
	s_load_b32 s14, s[0:1], 0x0
	s_load_b96 s[4:6], s[0:1], 0x8
	s_load_b32 s16, s[0:1], 0x3c
	s_load_b64 s[8:9], s[0:1], 0x20
	s_wait_xcnt 0x0
	s_bfe_u32 s0, ttmp6, 0x40010
	s_and_b32 s17, ttmp7, 0xffff
	s_add_co_i32 s0, s0, 1
	s_bfe_u32 s10, ttmp6, 0x40004
	s_bfe_u32 s11, ttmp6, 0x4000c
	s_mul_i32 s0, s17, s0
	s_add_co_i32 s11, s11, 1
	s_add_co_i32 s19, s10, s0
	s_mul_i32 s18, ttmp9, s11
	s_mov_b32 s1, s3
	s_and_b32 s13, ttmp6, 15
	v_bfe_u32 v1, v0, 10, 10
	s_add_co_i32 s18, s13, s18
	v_and_b32_e32 v0, 0x3ff, v0
	s_wait_kmcnt 0x0
	s_add_co_i32 s10, s14, -1
	s_ashr_i32 s15, s14, 31
	s_ashr_i32 s11, s10, 31
	;; [unrolled: 1-line block ×3, first 2 shown]
	s_mul_u64 s[10:11], s[10:11], s[14:15]
	s_lshr_b32 s15, s16, 16
	s_lshr_b32 s0, s11, 31
	s_and_b32 s16, s16, 0xffff
	s_add_nc_u64 s[0:1], s[10:11], s[0:1]
	s_delay_alu instid0(SALU_CYCLE_1) | instskip(SKIP_3) | instid1(SALU_CYCLE_1)
	s_ashr_i64 s[10:11], s[0:1], 1
	s_cmp_eq_u32 s12, 0
	s_mov_b32 s12, s6
	s_cselect_b32 s0, s17, s19
	v_mad_u32 v2, s0, s15, v1
	s_cselect_b32 s0, ttmp9, s18
	s_delay_alu instid0(SALU_CYCLE_1) | instskip(NEXT) | instid1(VALU_DEP_2)
	v_mad_u32 v6, s0, s16, v0
	v_not_b32_e32 v3, v2
	s_delay_alu instid0(VALU_DEP_2) | instskip(NEXT) | instid1(VALU_DEP_2)
	v_cmp_lt_i32_e64 s0, v2, v6
	v_lshl_add_u32 v0, s14, 1, v3
	s_delay_alu instid0(VALU_DEP_1) | instskip(NEXT) | instid1(VALU_DEP_1)
	v_mul_lo_u32 v4, v0, v2
	v_dual_ashrrev_i32 v7, 31, v6 :: v_dual_lshrrev_b32 v5, 31, v4
	s_delay_alu instid0(VALU_DEP_1) | instskip(NEXT) | instid1(VALU_DEP_2)
	v_mul_u64_e32 v[0:1], s[12:13], v[6:7]
	v_dual_add_nc_u32 v4, v4, v5 :: v_dual_max_i32 v5, v2, v6
	s_delay_alu instid0(VALU_DEP_1) | instskip(NEXT) | instid1(VALU_DEP_2)
	v_ashrrev_i32_e32 v4, 1, v4
	v_cmp_gt_i32_e32 vcc_lo, s14, v5
	s_delay_alu instid0(VALU_DEP_2) | instskip(SKIP_2) | instid1(VALU_DEP_2)
	v_add3_u32 v4, v6, v3, v4
	v_ashrrev_i32_e32 v3, 31, v2
	s_and_b32 s0, s0, vcc_lo
	v_ashrrev_i32_e32 v5, 31, v4
	s_branch .LBB21_3
.LBB21_2:                               ;   in Loop: Header=BB21_3 Depth=1
	s_wait_xcnt 0x0
	s_or_b32 exec_lo, exec_lo, s1
	s_add_co_i32 s2, s2, 0x10000
	s_delay_alu instid0(SALU_CYCLE_1)
	s_cmp_lt_u32 s2, s7
	s_cbranch_scc0 .LBB21_5
.LBB21_3:                               ; =>This Inner Loop Header: Depth=1
	s_mul_u64 s[12:13], s[10:11], s[2:3]
	s_delay_alu instid0(SALU_CYCLE_1) | instskip(NEXT) | instid1(SALU_CYCLE_1)
	s_lshl_b64 s[12:13], s[12:13], 3
	s_add_nc_u64 s[8:9], s[8:9], s[12:13]
	s_and_saveexec_b32 s1, s0
	s_cbranch_execz .LBB21_2
; %bb.4:                                ;   in Loop: Header=BB21_3 Depth=1
	s_lshl_b64 s[12:13], s[2:3], 3
	v_lshl_add_u64 v[8:9], v[4:5], 3, s[8:9]
	s_add_nc_u64 s[12:13], s[4:5], s[12:13]
	s_load_b64 s[12:13], s[12:13], 0x0
	s_wait_kmcnt 0x0
	v_lshl_add_u64 v[6:7], v[0:1], 3, s[12:13]
	s_delay_alu instid0(VALU_DEP_1)
	v_lshl_add_u64 v[6:7], v[2:3], 3, v[6:7]
	flat_load_b64 v[6:7], v[6:7]
	s_wait_loadcnt_dscnt 0x0
	global_store_b64 v[8:9], v[6:7], off
	s_branch .LBB21_2
.LBB21_5:
	s_endpgm
	.section	.rodata,"a",@progbits
	.p2align	6, 0x0
	.amdhsa_kernel _ZL40rocblas_copy_triangular_syrk_herk_kernelILb1ELb0ELb0EdPKPdLi16ELi16EEviT3_ilPT2_i
		.amdhsa_group_segment_fixed_size 0
		.amdhsa_private_segment_fixed_size 0
		.amdhsa_kernarg_size 304
		.amdhsa_user_sgpr_count 2
		.amdhsa_user_sgpr_dispatch_ptr 0
		.amdhsa_user_sgpr_queue_ptr 0
		.amdhsa_user_sgpr_kernarg_segment_ptr 1
		.amdhsa_user_sgpr_dispatch_id 0
		.amdhsa_user_sgpr_kernarg_preload_length 0
		.amdhsa_user_sgpr_kernarg_preload_offset 0
		.amdhsa_user_sgpr_private_segment_size 0
		.amdhsa_wavefront_size32 1
		.amdhsa_uses_dynamic_stack 0
		.amdhsa_enable_private_segment 0
		.amdhsa_system_sgpr_workgroup_id_x 1
		.amdhsa_system_sgpr_workgroup_id_y 1
		.amdhsa_system_sgpr_workgroup_id_z 1
		.amdhsa_system_sgpr_workgroup_info 0
		.amdhsa_system_vgpr_workitem_id 1
		.amdhsa_next_free_vgpr 10
		.amdhsa_next_free_sgpr 20
		.amdhsa_named_barrier_count 0
		.amdhsa_reserve_vcc 1
		.amdhsa_float_round_mode_32 0
		.amdhsa_float_round_mode_16_64 0
		.amdhsa_float_denorm_mode_32 3
		.amdhsa_float_denorm_mode_16_64 3
		.amdhsa_fp16_overflow 0
		.amdhsa_memory_ordered 1
		.amdhsa_forward_progress 1
		.amdhsa_inst_pref_size 5
		.amdhsa_round_robin_scheduling 0
		.amdhsa_exception_fp_ieee_invalid_op 0
		.amdhsa_exception_fp_denorm_src 0
		.amdhsa_exception_fp_ieee_div_zero 0
		.amdhsa_exception_fp_ieee_overflow 0
		.amdhsa_exception_fp_ieee_underflow 0
		.amdhsa_exception_fp_ieee_inexact 0
		.amdhsa_exception_int_div_zero 0
	.end_amdhsa_kernel
	.section	.text._ZL40rocblas_copy_triangular_syrk_herk_kernelILb1ELb0ELb0EdPKPdLi16ELi16EEviT3_ilPT2_i,"axG",@progbits,_ZL40rocblas_copy_triangular_syrk_herk_kernelILb1ELb0ELb0EdPKPdLi16ELi16EEviT3_ilPT2_i,comdat
.Lfunc_end21:
	.size	_ZL40rocblas_copy_triangular_syrk_herk_kernelILb1ELb0ELb0EdPKPdLi16ELi16EEviT3_ilPT2_i, .Lfunc_end21-_ZL40rocblas_copy_triangular_syrk_herk_kernelILb1ELb0ELb0EdPKPdLi16ELi16EEviT3_ilPT2_i
                                        ; -- End function
	.set _ZL40rocblas_copy_triangular_syrk_herk_kernelILb1ELb0ELb0EdPKPdLi16ELi16EEviT3_ilPT2_i.num_vgpr, 10
	.set _ZL40rocblas_copy_triangular_syrk_herk_kernelILb1ELb0ELb0EdPKPdLi16ELi16EEviT3_ilPT2_i.num_agpr, 0
	.set _ZL40rocblas_copy_triangular_syrk_herk_kernelILb1ELb0ELb0EdPKPdLi16ELi16EEviT3_ilPT2_i.numbered_sgpr, 20
	.set _ZL40rocblas_copy_triangular_syrk_herk_kernelILb1ELb0ELb0EdPKPdLi16ELi16EEviT3_ilPT2_i.num_named_barrier, 0
	.set _ZL40rocblas_copy_triangular_syrk_herk_kernelILb1ELb0ELb0EdPKPdLi16ELi16EEviT3_ilPT2_i.private_seg_size, 0
	.set _ZL40rocblas_copy_triangular_syrk_herk_kernelILb1ELb0ELb0EdPKPdLi16ELi16EEviT3_ilPT2_i.uses_vcc, 1
	.set _ZL40rocblas_copy_triangular_syrk_herk_kernelILb1ELb0ELb0EdPKPdLi16ELi16EEviT3_ilPT2_i.uses_flat_scratch, 0
	.set _ZL40rocblas_copy_triangular_syrk_herk_kernelILb1ELb0ELb0EdPKPdLi16ELi16EEviT3_ilPT2_i.has_dyn_sized_stack, 0
	.set _ZL40rocblas_copy_triangular_syrk_herk_kernelILb1ELb0ELb0EdPKPdLi16ELi16EEviT3_ilPT2_i.has_recursion, 0
	.set _ZL40rocblas_copy_triangular_syrk_herk_kernelILb1ELb0ELb0EdPKPdLi16ELi16EEviT3_ilPT2_i.has_indirect_call, 0
	.section	.AMDGPU.csdata,"",@progbits
; Kernel info:
; codeLenInByte = 520
; TotalNumSgprs: 22
; NumVgprs: 10
; ScratchSize: 0
; MemoryBound: 0
; FloatMode: 240
; IeeeMode: 1
; LDSByteSize: 0 bytes/workgroup (compile time only)
; SGPRBlocks: 0
; VGPRBlocks: 0
; NumSGPRsForWavesPerEU: 22
; NumVGPRsForWavesPerEU: 10
; NamedBarCnt: 0
; Occupancy: 16
; WaveLimiterHint : 1
; COMPUTE_PGM_RSRC2:SCRATCH_EN: 0
; COMPUTE_PGM_RSRC2:USER_SGPR: 2
; COMPUTE_PGM_RSRC2:TRAP_HANDLER: 0
; COMPUTE_PGM_RSRC2:TGID_X_EN: 1
; COMPUTE_PGM_RSRC2:TGID_Y_EN: 1
; COMPUTE_PGM_RSRC2:TGID_Z_EN: 1
; COMPUTE_PGM_RSRC2:TIDIG_COMP_CNT: 1
	.section	.text._ZL40rocblas_copy_triangular_syrk_herk_kernelILb0ELb1ELb0EdPKPdLi16ELi16EEviT3_ilPT2_i,"axG",@progbits,_ZL40rocblas_copy_triangular_syrk_herk_kernelILb0ELb1ELb0EdPKPdLi16ELi16EEviT3_ilPT2_i,comdat
	.globl	_ZL40rocblas_copy_triangular_syrk_herk_kernelILb0ELb1ELb0EdPKPdLi16ELi16EEviT3_ilPT2_i ; -- Begin function _ZL40rocblas_copy_triangular_syrk_herk_kernelILb0ELb1ELb0EdPKPdLi16ELi16EEviT3_ilPT2_i
	.p2align	8
	.type	_ZL40rocblas_copy_triangular_syrk_herk_kernelILb0ELb1ELb0EdPKPdLi16ELi16EEviT3_ilPT2_i,@function
_ZL40rocblas_copy_triangular_syrk_herk_kernelILb0ELb1ELb0EdPKPdLi16ELi16EEviT3_ilPT2_i: ; @_ZL40rocblas_copy_triangular_syrk_herk_kernelILb0ELb1ELb0EdPKPdLi16ELi16EEviT3_ilPT2_i
; %bb.0:
	s_load_b32 s7, s[0:1], 0x28
	s_bfe_u32 s2, ttmp6, 0x40014
	s_lshr_b32 s3, ttmp7, 16
	s_add_co_i32 s2, s2, 1
	s_bfe_u32 s4, ttmp6, 0x40008
	s_mul_i32 s2, s3, s2
	s_getreg_b32 s12, hwreg(HW_REG_IB_STS2, 6, 4)
	s_add_co_i32 s4, s4, s2
	s_cmp_eq_u32 s12, 0
	s_cselect_b32 s2, s3, s4
	s_mov_b32 s3, 0
	s_wait_kmcnt 0x0
	s_cmp_ge_u32 s2, s7
	s_cbranch_scc1 .LBB22_5
; %bb.1:
	s_clause 0x3
	s_load_b32 s14, s[0:1], 0x0
	s_load_b96 s[4:6], s[0:1], 0x8
	s_load_b64 s[8:9], s[0:1], 0x20
	s_load_b32 s16, s[0:1], 0x3c
	s_wait_xcnt 0x0
	s_bfe_u32 s0, ttmp6, 0x40010
	s_and_b32 s17, ttmp7, 0xffff
	s_add_co_i32 s0, s0, 1
	s_bfe_u32 s10, ttmp6, 0x40004
	s_bfe_u32 s11, ttmp6, 0x4000c
	s_mul_i32 s0, s17, s0
	s_add_co_i32 s11, s11, 1
	s_add_co_i32 s19, s10, s0
	s_mul_i32 s18, ttmp9, s11
	s_mov_b32 s1, s3
	s_and_b32 s13, ttmp6, 15
	v_bfe_u32 v1, v0, 10, 10
	s_add_co_i32 s18, s13, s18
	v_and_b32_e32 v2, 0x3ff, v0
	s_wait_kmcnt 0x0
	s_add_co_i32 s10, s14, -1
	s_ashr_i32 s15, s14, 31
	s_ashr_i32 s11, s10, 31
	;; [unrolled: 1-line block ×3, first 2 shown]
	s_mul_u64 s[10:11], s[10:11], s[14:15]
	s_lshr_b32 s15, s16, 16
	s_lshr_b32 s0, s11, 31
	s_and_b32 s16, s16, 0xffff
	s_add_nc_u64 s[0:1], s[10:11], s[0:1]
	s_delay_alu instid0(SALU_CYCLE_1) | instskip(SKIP_3) | instid1(SALU_CYCLE_1)
	s_ashr_i64 s[10:11], s[0:1], 1
	s_cmp_eq_u32 s12, 0
	s_mov_b32 s12, s6
	s_cselect_b32 s0, s17, s19
	v_mad_u32 v0, s0, s15, v1
	s_cselect_b32 s0, ttmp9, s18
	s_delay_alu instid0(SALU_CYCLE_1) | instskip(NEXT) | instid1(VALU_DEP_1)
	v_mad_u32 v6, s0, s16, v2
	v_dual_add_nc_u32 v1, -1, v0 :: v_dual_ashrrev_i32 v7, 31, v6
	v_cmp_gt_i32_e32 vcc_lo, v0, v6
	s_delay_alu instid0(VALU_DEP_2) | instskip(SKIP_1) | instid1(VALU_DEP_4)
	v_mul_lo_u32 v1, v1, v0
	v_max_i32_e32 v5, v0, v6
	v_mul_u64_e32 v[2:3], s[12:13], v[6:7]
	s_delay_alu instid0(VALU_DEP_2) | instskip(NEXT) | instid1(VALU_DEP_4)
	v_cmp_gt_i32_e64 s0, s14, v5
	v_lshrrev_b32_e32 v4, 31, v1
	s_and_b32 s0, vcc_lo, s0
	s_delay_alu instid0(VALU_DEP_1) | instskip(NEXT) | instid1(VALU_DEP_1)
	v_add_nc_u32_e32 v1, v1, v4
	v_ashrrev_i32_e32 v1, 1, v1
	s_delay_alu instid0(VALU_DEP_1) | instskip(NEXT) | instid1(VALU_DEP_1)
	v_dual_add_nc_u32 v4, v1, v6 :: v_dual_ashrrev_i32 v1, 31, v0
	v_ashrrev_i32_e32 v5, 31, v4
	s_branch .LBB22_3
.LBB22_2:                               ;   in Loop: Header=BB22_3 Depth=1
	s_wait_xcnt 0x0
	s_or_b32 exec_lo, exec_lo, s1
	s_add_co_i32 s2, s2, 0x10000
	s_delay_alu instid0(SALU_CYCLE_1)
	s_cmp_lt_u32 s2, s7
	s_cbranch_scc0 .LBB22_5
.LBB22_3:                               ; =>This Inner Loop Header: Depth=1
	s_mul_u64 s[12:13], s[10:11], s[2:3]
	s_delay_alu instid0(SALU_CYCLE_1) | instskip(NEXT) | instid1(SALU_CYCLE_1)
	s_lshl_b64 s[12:13], s[12:13], 3
	s_add_nc_u64 s[8:9], s[8:9], s[12:13]
	s_and_saveexec_b32 s1, s0
	s_cbranch_execz .LBB22_2
; %bb.4:                                ;   in Loop: Header=BB22_3 Depth=1
	v_lshl_add_u64 v[6:7], v[4:5], 3, s[8:9]
	s_lshl_b64 s[12:13], s[2:3], 3
	s_delay_alu instid0(SALU_CYCLE_1) | instskip(SKIP_4) | instid1(VALU_DEP_1)
	s_add_nc_u64 s[12:13], s[4:5], s[12:13]
	s_load_b64 s[12:13], s[12:13], 0x0
	global_load_b64 v[6:7], v[6:7], off
	s_wait_kmcnt 0x0
	v_lshl_add_u64 v[8:9], v[2:3], 3, s[12:13]
	v_lshl_add_u64 v[8:9], v[0:1], 3, v[8:9]
	s_wait_loadcnt 0x0
	flat_store_b64 v[8:9], v[6:7]
	s_branch .LBB22_2
.LBB22_5:
	s_endpgm
	.section	.rodata,"a",@progbits
	.p2align	6, 0x0
	.amdhsa_kernel _ZL40rocblas_copy_triangular_syrk_herk_kernelILb0ELb1ELb0EdPKPdLi16ELi16EEviT3_ilPT2_i
		.amdhsa_group_segment_fixed_size 0
		.amdhsa_private_segment_fixed_size 0
		.amdhsa_kernarg_size 304
		.amdhsa_user_sgpr_count 2
		.amdhsa_user_sgpr_dispatch_ptr 0
		.amdhsa_user_sgpr_queue_ptr 0
		.amdhsa_user_sgpr_kernarg_segment_ptr 1
		.amdhsa_user_sgpr_dispatch_id 0
		.amdhsa_user_sgpr_kernarg_preload_length 0
		.amdhsa_user_sgpr_kernarg_preload_offset 0
		.amdhsa_user_sgpr_private_segment_size 0
		.amdhsa_wavefront_size32 1
		.amdhsa_uses_dynamic_stack 0
		.amdhsa_enable_private_segment 0
		.amdhsa_system_sgpr_workgroup_id_x 1
		.amdhsa_system_sgpr_workgroup_id_y 1
		.amdhsa_system_sgpr_workgroup_id_z 1
		.amdhsa_system_sgpr_workgroup_info 0
		.amdhsa_system_vgpr_workitem_id 1
		.amdhsa_next_free_vgpr 10
		.amdhsa_next_free_sgpr 20
		.amdhsa_named_barrier_count 0
		.amdhsa_reserve_vcc 1
		.amdhsa_float_round_mode_32 0
		.amdhsa_float_round_mode_16_64 0
		.amdhsa_float_denorm_mode_32 3
		.amdhsa_float_denorm_mode_16_64 3
		.amdhsa_fp16_overflow 0
		.amdhsa_memory_ordered 1
		.amdhsa_forward_progress 1
		.amdhsa_inst_pref_size 4
		.amdhsa_round_robin_scheduling 0
		.amdhsa_exception_fp_ieee_invalid_op 0
		.amdhsa_exception_fp_denorm_src 0
		.amdhsa_exception_fp_ieee_div_zero 0
		.amdhsa_exception_fp_ieee_overflow 0
		.amdhsa_exception_fp_ieee_underflow 0
		.amdhsa_exception_fp_ieee_inexact 0
		.amdhsa_exception_int_div_zero 0
	.end_amdhsa_kernel
	.section	.text._ZL40rocblas_copy_triangular_syrk_herk_kernelILb0ELb1ELb0EdPKPdLi16ELi16EEviT3_ilPT2_i,"axG",@progbits,_ZL40rocblas_copy_triangular_syrk_herk_kernelILb0ELb1ELb0EdPKPdLi16ELi16EEviT3_ilPT2_i,comdat
.Lfunc_end22:
	.size	_ZL40rocblas_copy_triangular_syrk_herk_kernelILb0ELb1ELb0EdPKPdLi16ELi16EEviT3_ilPT2_i, .Lfunc_end22-_ZL40rocblas_copy_triangular_syrk_herk_kernelILb0ELb1ELb0EdPKPdLi16ELi16EEviT3_ilPT2_i
                                        ; -- End function
	.set _ZL40rocblas_copy_triangular_syrk_herk_kernelILb0ELb1ELb0EdPKPdLi16ELi16EEviT3_ilPT2_i.num_vgpr, 10
	.set _ZL40rocblas_copy_triangular_syrk_herk_kernelILb0ELb1ELb0EdPKPdLi16ELi16EEviT3_ilPT2_i.num_agpr, 0
	.set _ZL40rocblas_copy_triangular_syrk_herk_kernelILb0ELb1ELb0EdPKPdLi16ELi16EEviT3_ilPT2_i.numbered_sgpr, 20
	.set _ZL40rocblas_copy_triangular_syrk_herk_kernelILb0ELb1ELb0EdPKPdLi16ELi16EEviT3_ilPT2_i.num_named_barrier, 0
	.set _ZL40rocblas_copy_triangular_syrk_herk_kernelILb0ELb1ELb0EdPKPdLi16ELi16EEviT3_ilPT2_i.private_seg_size, 0
	.set _ZL40rocblas_copy_triangular_syrk_herk_kernelILb0ELb1ELb0EdPKPdLi16ELi16EEviT3_ilPT2_i.uses_vcc, 1
	.set _ZL40rocblas_copy_triangular_syrk_herk_kernelILb0ELb1ELb0EdPKPdLi16ELi16EEviT3_ilPT2_i.uses_flat_scratch, 0
	.set _ZL40rocblas_copy_triangular_syrk_herk_kernelILb0ELb1ELb0EdPKPdLi16ELi16EEviT3_ilPT2_i.has_dyn_sized_stack, 0
	.set _ZL40rocblas_copy_triangular_syrk_herk_kernelILb0ELb1ELb0EdPKPdLi16ELi16EEviT3_ilPT2_i.has_recursion, 0
	.set _ZL40rocblas_copy_triangular_syrk_herk_kernelILb0ELb1ELb0EdPKPdLi16ELi16EEviT3_ilPT2_i.has_indirect_call, 0
	.section	.AMDGPU.csdata,"",@progbits
; Kernel info:
; codeLenInByte = 504
; TotalNumSgprs: 22
; NumVgprs: 10
; ScratchSize: 0
; MemoryBound: 0
; FloatMode: 240
; IeeeMode: 1
; LDSByteSize: 0 bytes/workgroup (compile time only)
; SGPRBlocks: 0
; VGPRBlocks: 0
; NumSGPRsForWavesPerEU: 22
; NumVGPRsForWavesPerEU: 10
; NamedBarCnt: 0
; Occupancy: 16
; WaveLimiterHint : 1
; COMPUTE_PGM_RSRC2:SCRATCH_EN: 0
; COMPUTE_PGM_RSRC2:USER_SGPR: 2
; COMPUTE_PGM_RSRC2:TRAP_HANDLER: 0
; COMPUTE_PGM_RSRC2:TGID_X_EN: 1
; COMPUTE_PGM_RSRC2:TGID_Y_EN: 1
; COMPUTE_PGM_RSRC2:TGID_Z_EN: 1
; COMPUTE_PGM_RSRC2:TIDIG_COMP_CNT: 1
	.section	.text._ZL40rocblas_copy_triangular_syrk_herk_kernelILb0ELb0ELb0EdPKPdLi16ELi16EEviT3_ilPT2_i,"axG",@progbits,_ZL40rocblas_copy_triangular_syrk_herk_kernelILb0ELb0ELb0EdPKPdLi16ELi16EEviT3_ilPT2_i,comdat
	.globl	_ZL40rocblas_copy_triangular_syrk_herk_kernelILb0ELb0ELb0EdPKPdLi16ELi16EEviT3_ilPT2_i ; -- Begin function _ZL40rocblas_copy_triangular_syrk_herk_kernelILb0ELb0ELb0EdPKPdLi16ELi16EEviT3_ilPT2_i
	.p2align	8
	.type	_ZL40rocblas_copy_triangular_syrk_herk_kernelILb0ELb0ELb0EdPKPdLi16ELi16EEviT3_ilPT2_i,@function
_ZL40rocblas_copy_triangular_syrk_herk_kernelILb0ELb0ELb0EdPKPdLi16ELi16EEviT3_ilPT2_i: ; @_ZL40rocblas_copy_triangular_syrk_herk_kernelILb0ELb0ELb0EdPKPdLi16ELi16EEviT3_ilPT2_i
; %bb.0:
	s_load_b32 s7, s[0:1], 0x28
	s_bfe_u32 s2, ttmp6, 0x40014
	s_lshr_b32 s3, ttmp7, 16
	s_add_co_i32 s2, s2, 1
	s_bfe_u32 s4, ttmp6, 0x40008
	s_mul_i32 s2, s3, s2
	s_getreg_b32 s12, hwreg(HW_REG_IB_STS2, 6, 4)
	s_add_co_i32 s4, s4, s2
	s_cmp_eq_u32 s12, 0
	s_cselect_b32 s2, s3, s4
	s_mov_b32 s3, 0
	s_wait_kmcnt 0x0
	s_cmp_ge_u32 s2, s7
	s_cbranch_scc1 .LBB23_5
; %bb.1:
	s_clause 0x3
	s_load_b32 s14, s[0:1], 0x0
	s_load_b96 s[4:6], s[0:1], 0x8
	s_load_b64 s[8:9], s[0:1], 0x20
	s_load_b32 s16, s[0:1], 0x3c
	s_wait_xcnt 0x0
	s_bfe_u32 s0, ttmp6, 0x40010
	s_and_b32 s17, ttmp7, 0xffff
	s_add_co_i32 s0, s0, 1
	s_bfe_u32 s10, ttmp6, 0x40004
	s_bfe_u32 s11, ttmp6, 0x4000c
	s_mul_i32 s0, s17, s0
	s_add_co_i32 s11, s11, 1
	s_add_co_i32 s19, s10, s0
	s_mul_i32 s18, ttmp9, s11
	s_mov_b32 s1, s3
	s_and_b32 s13, ttmp6, 15
	v_bfe_u32 v1, v0, 10, 10
	s_add_co_i32 s18, s13, s18
	v_and_b32_e32 v0, 0x3ff, v0
	s_wait_kmcnt 0x0
	s_add_co_i32 s10, s14, -1
	s_ashr_i32 s15, s14, 31
	s_ashr_i32 s11, s10, 31
	s_ashr_i32 s13, s6, 31
	s_mul_u64 s[10:11], s[10:11], s[14:15]
	s_lshr_b32 s15, s16, 16
	s_lshr_b32 s0, s11, 31
	s_and_b32 s16, s16, 0xffff
	s_add_nc_u64 s[0:1], s[10:11], s[0:1]
	s_delay_alu instid0(SALU_CYCLE_1) | instskip(SKIP_3) | instid1(SALU_CYCLE_1)
	s_ashr_i64 s[10:11], s[0:1], 1
	s_cmp_eq_u32 s12, 0
	s_mov_b32 s12, s6
	s_cselect_b32 s0, s17, s19
	v_mad_u32 v2, s0, s15, v1
	s_cselect_b32 s0, ttmp9, s18
	s_delay_alu instid0(SALU_CYCLE_1) | instskip(NEXT) | instid1(VALU_DEP_2)
	v_mad_u32 v6, s0, s16, v0
	v_not_b32_e32 v3, v2
	s_delay_alu instid0(VALU_DEP_2) | instskip(NEXT) | instid1(VALU_DEP_2)
	v_cmp_lt_i32_e32 vcc_lo, v2, v6
	v_lshl_add_u32 v0, s14, 1, v3
	s_delay_alu instid0(VALU_DEP_1) | instskip(NEXT) | instid1(VALU_DEP_1)
	v_mul_lo_u32 v4, v0, v2
	v_dual_ashrrev_i32 v7, 31, v6 :: v_dual_lshrrev_b32 v5, 31, v4
	s_delay_alu instid0(VALU_DEP_1) | instskip(NEXT) | instid1(VALU_DEP_2)
	v_mul_u64_e32 v[0:1], s[12:13], v[6:7]
	v_dual_add_nc_u32 v4, v4, v5 :: v_dual_max_i32 v5, v2, v6
	s_delay_alu instid0(VALU_DEP_1) | instskip(NEXT) | instid1(VALU_DEP_2)
	v_ashrrev_i32_e32 v4, 1, v4
	v_cmp_gt_i32_e64 s0, s14, v5
	s_delay_alu instid0(VALU_DEP_2) | instskip(SKIP_2) | instid1(VALU_DEP_2)
	v_add3_u32 v4, v6, v3, v4
	v_ashrrev_i32_e32 v3, 31, v2
	s_and_b32 s0, vcc_lo, s0
	v_ashrrev_i32_e32 v5, 31, v4
	s_branch .LBB23_3
.LBB23_2:                               ;   in Loop: Header=BB23_3 Depth=1
	s_wait_xcnt 0x0
	s_or_b32 exec_lo, exec_lo, s1
	s_add_co_i32 s2, s2, 0x10000
	s_delay_alu instid0(SALU_CYCLE_1)
	s_cmp_lt_u32 s2, s7
	s_cbranch_scc0 .LBB23_5
.LBB23_3:                               ; =>This Inner Loop Header: Depth=1
	s_mul_u64 s[12:13], s[10:11], s[2:3]
	s_delay_alu instid0(SALU_CYCLE_1) | instskip(NEXT) | instid1(SALU_CYCLE_1)
	s_lshl_b64 s[12:13], s[12:13], 3
	s_add_nc_u64 s[8:9], s[8:9], s[12:13]
	s_and_saveexec_b32 s1, s0
	s_cbranch_execz .LBB23_2
; %bb.4:                                ;   in Loop: Header=BB23_3 Depth=1
	v_lshl_add_u64 v[6:7], v[4:5], 3, s[8:9]
	s_lshl_b64 s[12:13], s[2:3], 3
	s_delay_alu instid0(SALU_CYCLE_1) | instskip(SKIP_4) | instid1(VALU_DEP_1)
	s_add_nc_u64 s[12:13], s[4:5], s[12:13]
	s_load_b64 s[12:13], s[12:13], 0x0
	global_load_b64 v[6:7], v[6:7], off
	s_wait_kmcnt 0x0
	v_lshl_add_u64 v[8:9], v[0:1], 3, s[12:13]
	v_lshl_add_u64 v[8:9], v[2:3], 3, v[8:9]
	s_wait_loadcnt 0x0
	flat_store_b64 v[8:9], v[6:7]
	s_branch .LBB23_2
.LBB23_5:
	s_endpgm
	.section	.rodata,"a",@progbits
	.p2align	6, 0x0
	.amdhsa_kernel _ZL40rocblas_copy_triangular_syrk_herk_kernelILb0ELb0ELb0EdPKPdLi16ELi16EEviT3_ilPT2_i
		.amdhsa_group_segment_fixed_size 0
		.amdhsa_private_segment_fixed_size 0
		.amdhsa_kernarg_size 304
		.amdhsa_user_sgpr_count 2
		.amdhsa_user_sgpr_dispatch_ptr 0
		.amdhsa_user_sgpr_queue_ptr 0
		.amdhsa_user_sgpr_kernarg_segment_ptr 1
		.amdhsa_user_sgpr_dispatch_id 0
		.amdhsa_user_sgpr_kernarg_preload_length 0
		.amdhsa_user_sgpr_kernarg_preload_offset 0
		.amdhsa_user_sgpr_private_segment_size 0
		.amdhsa_wavefront_size32 1
		.amdhsa_uses_dynamic_stack 0
		.amdhsa_enable_private_segment 0
		.amdhsa_system_sgpr_workgroup_id_x 1
		.amdhsa_system_sgpr_workgroup_id_y 1
		.amdhsa_system_sgpr_workgroup_id_z 1
		.amdhsa_system_sgpr_workgroup_info 0
		.amdhsa_system_vgpr_workitem_id 1
		.amdhsa_next_free_vgpr 10
		.amdhsa_next_free_sgpr 20
		.amdhsa_named_barrier_count 0
		.amdhsa_reserve_vcc 1
		.amdhsa_float_round_mode_32 0
		.amdhsa_float_round_mode_16_64 0
		.amdhsa_float_denorm_mode_32 3
		.amdhsa_float_denorm_mode_16_64 3
		.amdhsa_fp16_overflow 0
		.amdhsa_memory_ordered 1
		.amdhsa_forward_progress 1
		.amdhsa_inst_pref_size 5
		.amdhsa_round_robin_scheduling 0
		.amdhsa_exception_fp_ieee_invalid_op 0
		.amdhsa_exception_fp_denorm_src 0
		.amdhsa_exception_fp_ieee_div_zero 0
		.amdhsa_exception_fp_ieee_overflow 0
		.amdhsa_exception_fp_ieee_underflow 0
		.amdhsa_exception_fp_ieee_inexact 0
		.amdhsa_exception_int_div_zero 0
	.end_amdhsa_kernel
	.section	.text._ZL40rocblas_copy_triangular_syrk_herk_kernelILb0ELb0ELb0EdPKPdLi16ELi16EEviT3_ilPT2_i,"axG",@progbits,_ZL40rocblas_copy_triangular_syrk_herk_kernelILb0ELb0ELb0EdPKPdLi16ELi16EEviT3_ilPT2_i,comdat
.Lfunc_end23:
	.size	_ZL40rocblas_copy_triangular_syrk_herk_kernelILb0ELb0ELb0EdPKPdLi16ELi16EEviT3_ilPT2_i, .Lfunc_end23-_ZL40rocblas_copy_triangular_syrk_herk_kernelILb0ELb0ELb0EdPKPdLi16ELi16EEviT3_ilPT2_i
                                        ; -- End function
	.set _ZL40rocblas_copy_triangular_syrk_herk_kernelILb0ELb0ELb0EdPKPdLi16ELi16EEviT3_ilPT2_i.num_vgpr, 10
	.set _ZL40rocblas_copy_triangular_syrk_herk_kernelILb0ELb0ELb0EdPKPdLi16ELi16EEviT3_ilPT2_i.num_agpr, 0
	.set _ZL40rocblas_copy_triangular_syrk_herk_kernelILb0ELb0ELb0EdPKPdLi16ELi16EEviT3_ilPT2_i.numbered_sgpr, 20
	.set _ZL40rocblas_copy_triangular_syrk_herk_kernelILb0ELb0ELb0EdPKPdLi16ELi16EEviT3_ilPT2_i.num_named_barrier, 0
	.set _ZL40rocblas_copy_triangular_syrk_herk_kernelILb0ELb0ELb0EdPKPdLi16ELi16EEviT3_ilPT2_i.private_seg_size, 0
	.set _ZL40rocblas_copy_triangular_syrk_herk_kernelILb0ELb0ELb0EdPKPdLi16ELi16EEviT3_ilPT2_i.uses_vcc, 1
	.set _ZL40rocblas_copy_triangular_syrk_herk_kernelILb0ELb0ELb0EdPKPdLi16ELi16EEviT3_ilPT2_i.uses_flat_scratch, 0
	.set _ZL40rocblas_copy_triangular_syrk_herk_kernelILb0ELb0ELb0EdPKPdLi16ELi16EEviT3_ilPT2_i.has_dyn_sized_stack, 0
	.set _ZL40rocblas_copy_triangular_syrk_herk_kernelILb0ELb0ELb0EdPKPdLi16ELi16EEviT3_ilPT2_i.has_recursion, 0
	.set _ZL40rocblas_copy_triangular_syrk_herk_kernelILb0ELb0ELb0EdPKPdLi16ELi16EEviT3_ilPT2_i.has_indirect_call, 0
	.section	.AMDGPU.csdata,"",@progbits
; Kernel info:
; codeLenInByte = 520
; TotalNumSgprs: 22
; NumVgprs: 10
; ScratchSize: 0
; MemoryBound: 0
; FloatMode: 240
; IeeeMode: 1
; LDSByteSize: 0 bytes/workgroup (compile time only)
; SGPRBlocks: 0
; VGPRBlocks: 0
; NumSGPRsForWavesPerEU: 22
; NumVGPRsForWavesPerEU: 10
; NamedBarCnt: 0
; Occupancy: 16
; WaveLimiterHint : 1
; COMPUTE_PGM_RSRC2:SCRATCH_EN: 0
; COMPUTE_PGM_RSRC2:USER_SGPR: 2
; COMPUTE_PGM_RSRC2:TRAP_HANDLER: 0
; COMPUTE_PGM_RSRC2:TGID_X_EN: 1
; COMPUTE_PGM_RSRC2:TGID_Y_EN: 1
; COMPUTE_PGM_RSRC2:TGID_Z_EN: 1
; COMPUTE_PGM_RSRC2:TIDIG_COMP_CNT: 1
	.section	.text._ZL40rocblas_copy_triangular_syrk_herk_kernelILb1ELb1ELb0E19rocblas_complex_numIfEPKPS1_Li16ELi16EEviT3_ilPT2_i,"axG",@progbits,_ZL40rocblas_copy_triangular_syrk_herk_kernelILb1ELb1ELb0E19rocblas_complex_numIfEPKPS1_Li16ELi16EEviT3_ilPT2_i,comdat
	.globl	_ZL40rocblas_copy_triangular_syrk_herk_kernelILb1ELb1ELb0E19rocblas_complex_numIfEPKPS1_Li16ELi16EEviT3_ilPT2_i ; -- Begin function _ZL40rocblas_copy_triangular_syrk_herk_kernelILb1ELb1ELb0E19rocblas_complex_numIfEPKPS1_Li16ELi16EEviT3_ilPT2_i
	.p2align	8
	.type	_ZL40rocblas_copy_triangular_syrk_herk_kernelILb1ELb1ELb0E19rocblas_complex_numIfEPKPS1_Li16ELi16EEviT3_ilPT2_i,@function
_ZL40rocblas_copy_triangular_syrk_herk_kernelILb1ELb1ELb0E19rocblas_complex_numIfEPKPS1_Li16ELi16EEviT3_ilPT2_i: ; @_ZL40rocblas_copy_triangular_syrk_herk_kernelILb1ELb1ELb0E19rocblas_complex_numIfEPKPS1_Li16ELi16EEviT3_ilPT2_i
; %bb.0:
	s_load_b32 s7, s[0:1], 0x28
	s_bfe_u32 s2, ttmp6, 0x40014
	s_lshr_b32 s3, ttmp7, 16
	s_add_co_i32 s2, s2, 1
	s_bfe_u32 s4, ttmp6, 0x40008
	s_mul_i32 s2, s3, s2
	s_getreg_b32 s12, hwreg(HW_REG_IB_STS2, 6, 4)
	s_add_co_i32 s4, s4, s2
	s_cmp_eq_u32 s12, 0
	s_cselect_b32 s2, s3, s4
	s_mov_b32 s3, 0
	s_wait_kmcnt 0x0
	s_cmp_ge_u32 s2, s7
	s_cbranch_scc1 .LBB24_5
; %bb.1:
	s_clause 0x3
	s_load_b32 s14, s[0:1], 0x0
	s_load_b96 s[4:6], s[0:1], 0x8
	s_load_b64 s[8:9], s[0:1], 0x20
	s_load_b32 s16, s[0:1], 0x3c
	s_wait_xcnt 0x0
	s_bfe_u32 s0, ttmp6, 0x40010
	s_and_b32 s17, ttmp7, 0xffff
	s_add_co_i32 s0, s0, 1
	s_bfe_u32 s10, ttmp6, 0x40004
	s_bfe_u32 s11, ttmp6, 0x4000c
	s_mul_i32 s0, s17, s0
	s_add_co_i32 s11, s11, 1
	s_add_co_i32 s19, s10, s0
	s_mul_i32 s18, ttmp9, s11
	s_mov_b32 s1, s3
	s_and_b32 s13, ttmp6, 15
	v_bfe_u32 v1, v0, 10, 10
	s_add_co_i32 s18, s13, s18
	v_and_b32_e32 v2, 0x3ff, v0
	s_wait_kmcnt 0x0
	s_add_co_i32 s10, s14, -1
	s_ashr_i32 s15, s14, 31
	s_ashr_i32 s11, s10, 31
	;; [unrolled: 1-line block ×3, first 2 shown]
	s_mul_u64 s[10:11], s[10:11], s[14:15]
	s_lshr_b32 s15, s16, 16
	s_lshr_b32 s0, s11, 31
	s_and_b32 s16, s16, 0xffff
	s_add_nc_u64 s[0:1], s[10:11], s[0:1]
	s_delay_alu instid0(SALU_CYCLE_1) | instskip(SKIP_3) | instid1(SALU_CYCLE_1)
	s_ashr_i64 s[10:11], s[0:1], 1
	s_cmp_eq_u32 s12, 0
	s_mov_b32 s12, s6
	s_cselect_b32 s0, s17, s19
	v_mad_u32 v0, s0, s15, v1
	s_cselect_b32 s0, ttmp9, s18
	s_delay_alu instid0(SALU_CYCLE_1) | instskip(NEXT) | instid1(VALU_DEP_1)
	v_mad_u32 v6, s0, s16, v2
	v_dual_add_nc_u32 v1, -1, v0 :: v_dual_ashrrev_i32 v7, 31, v6
	v_cmp_gt_i32_e32 vcc_lo, v0, v6
	s_delay_alu instid0(VALU_DEP_2) | instskip(SKIP_1) | instid1(VALU_DEP_4)
	v_mul_lo_u32 v1, v1, v0
	v_max_i32_e32 v5, v0, v6
	v_mul_u64_e32 v[2:3], s[12:13], v[6:7]
	s_delay_alu instid0(VALU_DEP_2) | instskip(NEXT) | instid1(VALU_DEP_4)
	v_cmp_gt_i32_e64 s0, s14, v5
	v_lshrrev_b32_e32 v4, 31, v1
	s_and_b32 s0, vcc_lo, s0
	s_delay_alu instid0(VALU_DEP_1) | instskip(NEXT) | instid1(VALU_DEP_1)
	v_add_nc_u32_e32 v1, v1, v4
	v_ashrrev_i32_e32 v1, 1, v1
	s_delay_alu instid0(VALU_DEP_1) | instskip(NEXT) | instid1(VALU_DEP_1)
	v_dual_add_nc_u32 v4, v1, v6 :: v_dual_ashrrev_i32 v1, 31, v0
	v_dual_mov_b32 v6, 0 :: v_dual_ashrrev_i32 v5, 31, v4
	s_branch .LBB24_3
.LBB24_2:                               ;   in Loop: Header=BB24_3 Depth=1
	s_wait_xcnt 0x0
	s_or_b32 exec_lo, exec_lo, s1
	s_add_co_i32 s2, s2, 0x10000
	s_delay_alu instid0(SALU_CYCLE_1)
	s_cmp_lt_u32 s2, s7
	s_cbranch_scc0 .LBB24_5
.LBB24_3:                               ; =>This Inner Loop Header: Depth=1
	s_mul_u64 s[12:13], s[10:11], s[2:3]
	s_delay_alu instid0(SALU_CYCLE_1) | instskip(NEXT) | instid1(SALU_CYCLE_1)
	s_lshl_b64 s[12:13], s[12:13], 3
	s_add_nc_u64 s[8:9], s[8:9], s[12:13]
	s_and_saveexec_b32 s1, s0
	s_cbranch_execz .LBB24_2
; %bb.4:                                ;   in Loop: Header=BB24_3 Depth=1
	s_lshl_b64 s[12:13], s[2:3], 3
	v_lshl_add_u64 v[10:11], v[4:5], 3, s[8:9]
	s_add_nc_u64 s[12:13], s[4:5], s[12:13]
	global_load_b64 v[8:9], v6, s[12:13]
	s_wait_loadcnt 0x0
	v_lshl_add_u64 v[8:9], v[2:3], 3, v[8:9]
	s_delay_alu instid0(VALU_DEP_1)
	v_lshl_add_u64 v[8:9], v[0:1], 3, v[8:9]
	flat_load_b64 v[8:9], v[8:9]
	s_wait_loadcnt_dscnt 0x0
	global_store_b64 v[10:11], v[8:9], off
	s_branch .LBB24_2
.LBB24_5:
	s_endpgm
	.section	.rodata,"a",@progbits
	.p2align	6, 0x0
	.amdhsa_kernel _ZL40rocblas_copy_triangular_syrk_herk_kernelILb1ELb1ELb0E19rocblas_complex_numIfEPKPS1_Li16ELi16EEviT3_ilPT2_i
		.amdhsa_group_segment_fixed_size 0
		.amdhsa_private_segment_fixed_size 0
		.amdhsa_kernarg_size 304
		.amdhsa_user_sgpr_count 2
		.amdhsa_user_sgpr_dispatch_ptr 0
		.amdhsa_user_sgpr_queue_ptr 0
		.amdhsa_user_sgpr_kernarg_segment_ptr 1
		.amdhsa_user_sgpr_dispatch_id 0
		.amdhsa_user_sgpr_kernarg_preload_length 0
		.amdhsa_user_sgpr_kernarg_preload_offset 0
		.amdhsa_user_sgpr_private_segment_size 0
		.amdhsa_wavefront_size32 1
		.amdhsa_uses_dynamic_stack 0
		.amdhsa_enable_private_segment 0
		.amdhsa_system_sgpr_workgroup_id_x 1
		.amdhsa_system_sgpr_workgroup_id_y 1
		.amdhsa_system_sgpr_workgroup_id_z 1
		.amdhsa_system_sgpr_workgroup_info 0
		.amdhsa_system_vgpr_workitem_id 1
		.amdhsa_next_free_vgpr 12
		.amdhsa_next_free_sgpr 20
		.amdhsa_named_barrier_count 0
		.amdhsa_reserve_vcc 1
		.amdhsa_float_round_mode_32 0
		.amdhsa_float_round_mode_16_64 0
		.amdhsa_float_denorm_mode_32 3
		.amdhsa_float_denorm_mode_16_64 3
		.amdhsa_fp16_overflow 0
		.amdhsa_memory_ordered 1
		.amdhsa_forward_progress 1
		.amdhsa_inst_pref_size 4
		.amdhsa_round_robin_scheduling 0
		.amdhsa_exception_fp_ieee_invalid_op 0
		.amdhsa_exception_fp_denorm_src 0
		.amdhsa_exception_fp_ieee_div_zero 0
		.amdhsa_exception_fp_ieee_overflow 0
		.amdhsa_exception_fp_ieee_underflow 0
		.amdhsa_exception_fp_ieee_inexact 0
		.amdhsa_exception_int_div_zero 0
	.end_amdhsa_kernel
	.section	.text._ZL40rocblas_copy_triangular_syrk_herk_kernelILb1ELb1ELb0E19rocblas_complex_numIfEPKPS1_Li16ELi16EEviT3_ilPT2_i,"axG",@progbits,_ZL40rocblas_copy_triangular_syrk_herk_kernelILb1ELb1ELb0E19rocblas_complex_numIfEPKPS1_Li16ELi16EEviT3_ilPT2_i,comdat
.Lfunc_end24:
	.size	_ZL40rocblas_copy_triangular_syrk_herk_kernelILb1ELb1ELb0E19rocblas_complex_numIfEPKPS1_Li16ELi16EEviT3_ilPT2_i, .Lfunc_end24-_ZL40rocblas_copy_triangular_syrk_herk_kernelILb1ELb1ELb0E19rocblas_complex_numIfEPKPS1_Li16ELi16EEviT3_ilPT2_i
                                        ; -- End function
	.set _ZL40rocblas_copy_triangular_syrk_herk_kernelILb1ELb1ELb0E19rocblas_complex_numIfEPKPS1_Li16ELi16EEviT3_ilPT2_i.num_vgpr, 12
	.set _ZL40rocblas_copy_triangular_syrk_herk_kernelILb1ELb1ELb0E19rocblas_complex_numIfEPKPS1_Li16ELi16EEviT3_ilPT2_i.num_agpr, 0
	.set _ZL40rocblas_copy_triangular_syrk_herk_kernelILb1ELb1ELb0E19rocblas_complex_numIfEPKPS1_Li16ELi16EEviT3_ilPT2_i.numbered_sgpr, 20
	.set _ZL40rocblas_copy_triangular_syrk_herk_kernelILb1ELb1ELb0E19rocblas_complex_numIfEPKPS1_Li16ELi16EEviT3_ilPT2_i.num_named_barrier, 0
	.set _ZL40rocblas_copy_triangular_syrk_herk_kernelILb1ELb1ELb0E19rocblas_complex_numIfEPKPS1_Li16ELi16EEviT3_ilPT2_i.private_seg_size, 0
	.set _ZL40rocblas_copy_triangular_syrk_herk_kernelILb1ELb1ELb0E19rocblas_complex_numIfEPKPS1_Li16ELi16EEviT3_ilPT2_i.uses_vcc, 1
	.set _ZL40rocblas_copy_triangular_syrk_herk_kernelILb1ELb1ELb0E19rocblas_complex_numIfEPKPS1_Li16ELi16EEviT3_ilPT2_i.uses_flat_scratch, 0
	.set _ZL40rocblas_copy_triangular_syrk_herk_kernelILb1ELb1ELb0E19rocblas_complex_numIfEPKPS1_Li16ELi16EEviT3_ilPT2_i.has_dyn_sized_stack, 0
	.set _ZL40rocblas_copy_triangular_syrk_herk_kernelILb1ELb1ELb0E19rocblas_complex_numIfEPKPS1_Li16ELi16EEviT3_ilPT2_i.has_recursion, 0
	.set _ZL40rocblas_copy_triangular_syrk_herk_kernelILb1ELb1ELb0E19rocblas_complex_numIfEPKPS1_Li16ELi16EEviT3_ilPT2_i.has_indirect_call, 0
	.section	.AMDGPU.csdata,"",@progbits
; Kernel info:
; codeLenInByte = 512
; TotalNumSgprs: 22
; NumVgprs: 12
; ScratchSize: 0
; MemoryBound: 0
; FloatMode: 240
; IeeeMode: 1
; LDSByteSize: 0 bytes/workgroup (compile time only)
; SGPRBlocks: 0
; VGPRBlocks: 0
; NumSGPRsForWavesPerEU: 22
; NumVGPRsForWavesPerEU: 12
; NamedBarCnt: 0
; Occupancy: 16
; WaveLimiterHint : 1
; COMPUTE_PGM_RSRC2:SCRATCH_EN: 0
; COMPUTE_PGM_RSRC2:USER_SGPR: 2
; COMPUTE_PGM_RSRC2:TRAP_HANDLER: 0
; COMPUTE_PGM_RSRC2:TGID_X_EN: 1
; COMPUTE_PGM_RSRC2:TGID_Y_EN: 1
; COMPUTE_PGM_RSRC2:TGID_Z_EN: 1
; COMPUTE_PGM_RSRC2:TIDIG_COMP_CNT: 1
	.section	.text._ZL40rocblas_copy_triangular_syrk_herk_kernelILb1ELb0ELb0E19rocblas_complex_numIfEPKPS1_Li16ELi16EEviT3_ilPT2_i,"axG",@progbits,_ZL40rocblas_copy_triangular_syrk_herk_kernelILb1ELb0ELb0E19rocblas_complex_numIfEPKPS1_Li16ELi16EEviT3_ilPT2_i,comdat
	.globl	_ZL40rocblas_copy_triangular_syrk_herk_kernelILb1ELb0ELb0E19rocblas_complex_numIfEPKPS1_Li16ELi16EEviT3_ilPT2_i ; -- Begin function _ZL40rocblas_copy_triangular_syrk_herk_kernelILb1ELb0ELb0E19rocblas_complex_numIfEPKPS1_Li16ELi16EEviT3_ilPT2_i
	.p2align	8
	.type	_ZL40rocblas_copy_triangular_syrk_herk_kernelILb1ELb0ELb0E19rocblas_complex_numIfEPKPS1_Li16ELi16EEviT3_ilPT2_i,@function
_ZL40rocblas_copy_triangular_syrk_herk_kernelILb1ELb0ELb0E19rocblas_complex_numIfEPKPS1_Li16ELi16EEviT3_ilPT2_i: ; @_ZL40rocblas_copy_triangular_syrk_herk_kernelILb1ELb0ELb0E19rocblas_complex_numIfEPKPS1_Li16ELi16EEviT3_ilPT2_i
; %bb.0:
	s_load_b32 s7, s[0:1], 0x28
	s_bfe_u32 s2, ttmp6, 0x40014
	s_lshr_b32 s3, ttmp7, 16
	s_add_co_i32 s2, s2, 1
	s_bfe_u32 s4, ttmp6, 0x40008
	s_mul_i32 s2, s3, s2
	s_getreg_b32 s12, hwreg(HW_REG_IB_STS2, 6, 4)
	s_add_co_i32 s4, s4, s2
	s_cmp_eq_u32 s12, 0
	s_cselect_b32 s2, s3, s4
	s_mov_b32 s3, 0
	s_wait_kmcnt 0x0
	s_cmp_ge_u32 s2, s7
	s_cbranch_scc1 .LBB25_5
; %bb.1:
	s_clause 0x3
	s_load_b32 s14, s[0:1], 0x0
	s_load_b96 s[4:6], s[0:1], 0x8
	s_load_b64 s[8:9], s[0:1], 0x20
	s_load_b32 s16, s[0:1], 0x3c
	s_wait_xcnt 0x0
	s_bfe_u32 s0, ttmp6, 0x40010
	s_and_b32 s17, ttmp7, 0xffff
	s_add_co_i32 s0, s0, 1
	s_bfe_u32 s10, ttmp6, 0x40004
	s_bfe_u32 s11, ttmp6, 0x4000c
	s_mul_i32 s0, s17, s0
	s_add_co_i32 s11, s11, 1
	s_add_co_i32 s19, s10, s0
	s_mul_i32 s18, ttmp9, s11
	s_mov_b32 s1, s3
	s_and_b32 s13, ttmp6, 15
	v_bfe_u32 v1, v0, 10, 10
	s_add_co_i32 s18, s13, s18
	v_and_b32_e32 v0, 0x3ff, v0
	s_wait_kmcnt 0x0
	s_add_co_i32 s10, s14, -1
	s_ashr_i32 s15, s14, 31
	s_ashr_i32 s11, s10, 31
	;; [unrolled: 1-line block ×3, first 2 shown]
	s_mul_u64 s[10:11], s[10:11], s[14:15]
	s_lshr_b32 s15, s16, 16
	s_lshr_b32 s0, s11, 31
	s_and_b32 s16, s16, 0xffff
	s_add_nc_u64 s[0:1], s[10:11], s[0:1]
	s_delay_alu instid0(SALU_CYCLE_1) | instskip(SKIP_3) | instid1(SALU_CYCLE_1)
	s_ashr_i64 s[10:11], s[0:1], 1
	s_cmp_eq_u32 s12, 0
	s_mov_b32 s12, s6
	s_cselect_b32 s0, s17, s19
	v_mad_u32 v2, s0, s15, v1
	s_cselect_b32 s0, ttmp9, s18
	s_delay_alu instid0(SALU_CYCLE_1) | instskip(NEXT) | instid1(VALU_DEP_2)
	v_mad_u32 v6, s0, s16, v0
	v_not_b32_e32 v3, v2
	s_delay_alu instid0(VALU_DEP_2) | instskip(NEXT) | instid1(VALU_DEP_2)
	v_cmp_lt_i32_e32 vcc_lo, v2, v6
	v_lshl_add_u32 v0, s14, 1, v3
	s_delay_alu instid0(VALU_DEP_1) | instskip(NEXT) | instid1(VALU_DEP_1)
	v_mul_lo_u32 v4, v0, v2
	v_dual_ashrrev_i32 v7, 31, v6 :: v_dual_lshrrev_b32 v5, 31, v4
	s_delay_alu instid0(VALU_DEP_1) | instskip(NEXT) | instid1(VALU_DEP_2)
	v_mul_u64_e32 v[0:1], s[12:13], v[6:7]
	v_dual_add_nc_u32 v4, v4, v5 :: v_dual_max_i32 v5, v2, v6
	s_delay_alu instid0(VALU_DEP_1) | instskip(NEXT) | instid1(VALU_DEP_2)
	v_ashrrev_i32_e32 v4, 1, v4
	v_cmp_gt_i32_e64 s0, s14, v5
	s_delay_alu instid0(VALU_DEP_2) | instskip(SKIP_2) | instid1(VALU_DEP_2)
	v_add3_u32 v4, v6, v3, v4
	v_ashrrev_i32_e32 v3, 31, v2
	s_and_b32 s0, vcc_lo, s0
	v_dual_mov_b32 v6, 0 :: v_dual_ashrrev_i32 v5, 31, v4
	s_branch .LBB25_3
.LBB25_2:                               ;   in Loop: Header=BB25_3 Depth=1
	s_wait_xcnt 0x0
	s_or_b32 exec_lo, exec_lo, s1
	s_add_co_i32 s2, s2, 0x10000
	s_delay_alu instid0(SALU_CYCLE_1)
	s_cmp_lt_u32 s2, s7
	s_cbranch_scc0 .LBB25_5
.LBB25_3:                               ; =>This Inner Loop Header: Depth=1
	s_mul_u64 s[12:13], s[10:11], s[2:3]
	s_delay_alu instid0(SALU_CYCLE_1) | instskip(NEXT) | instid1(SALU_CYCLE_1)
	s_lshl_b64 s[12:13], s[12:13], 3
	s_add_nc_u64 s[8:9], s[8:9], s[12:13]
	s_and_saveexec_b32 s1, s0
	s_cbranch_execz .LBB25_2
; %bb.4:                                ;   in Loop: Header=BB25_3 Depth=1
	s_lshl_b64 s[12:13], s[2:3], 3
	v_lshl_add_u64 v[10:11], v[4:5], 3, s[8:9]
	s_add_nc_u64 s[12:13], s[4:5], s[12:13]
	global_load_b64 v[8:9], v6, s[12:13]
	s_wait_loadcnt 0x0
	v_lshl_add_u64 v[8:9], v[0:1], 3, v[8:9]
	s_delay_alu instid0(VALU_DEP_1)
	v_lshl_add_u64 v[8:9], v[2:3], 3, v[8:9]
	flat_load_b64 v[8:9], v[8:9]
	s_wait_loadcnt_dscnt 0x0
	global_store_b64 v[10:11], v[8:9], off
	s_branch .LBB25_2
.LBB25_5:
	s_endpgm
	.section	.rodata,"a",@progbits
	.p2align	6, 0x0
	.amdhsa_kernel _ZL40rocblas_copy_triangular_syrk_herk_kernelILb1ELb0ELb0E19rocblas_complex_numIfEPKPS1_Li16ELi16EEviT3_ilPT2_i
		.amdhsa_group_segment_fixed_size 0
		.amdhsa_private_segment_fixed_size 0
		.amdhsa_kernarg_size 304
		.amdhsa_user_sgpr_count 2
		.amdhsa_user_sgpr_dispatch_ptr 0
		.amdhsa_user_sgpr_queue_ptr 0
		.amdhsa_user_sgpr_kernarg_segment_ptr 1
		.amdhsa_user_sgpr_dispatch_id 0
		.amdhsa_user_sgpr_kernarg_preload_length 0
		.amdhsa_user_sgpr_kernarg_preload_offset 0
		.amdhsa_user_sgpr_private_segment_size 0
		.amdhsa_wavefront_size32 1
		.amdhsa_uses_dynamic_stack 0
		.amdhsa_enable_private_segment 0
		.amdhsa_system_sgpr_workgroup_id_x 1
		.amdhsa_system_sgpr_workgroup_id_y 1
		.amdhsa_system_sgpr_workgroup_id_z 1
		.amdhsa_system_sgpr_workgroup_info 0
		.amdhsa_system_vgpr_workitem_id 1
		.amdhsa_next_free_vgpr 12
		.amdhsa_next_free_sgpr 20
		.amdhsa_named_barrier_count 0
		.amdhsa_reserve_vcc 1
		.amdhsa_float_round_mode_32 0
		.amdhsa_float_round_mode_16_64 0
		.amdhsa_float_denorm_mode_32 3
		.amdhsa_float_denorm_mode_16_64 3
		.amdhsa_fp16_overflow 0
		.amdhsa_memory_ordered 1
		.amdhsa_forward_progress 1
		.amdhsa_inst_pref_size 5
		.amdhsa_round_robin_scheduling 0
		.amdhsa_exception_fp_ieee_invalid_op 0
		.amdhsa_exception_fp_denorm_src 0
		.amdhsa_exception_fp_ieee_div_zero 0
		.amdhsa_exception_fp_ieee_overflow 0
		.amdhsa_exception_fp_ieee_underflow 0
		.amdhsa_exception_fp_ieee_inexact 0
		.amdhsa_exception_int_div_zero 0
	.end_amdhsa_kernel
	.section	.text._ZL40rocblas_copy_triangular_syrk_herk_kernelILb1ELb0ELb0E19rocblas_complex_numIfEPKPS1_Li16ELi16EEviT3_ilPT2_i,"axG",@progbits,_ZL40rocblas_copy_triangular_syrk_herk_kernelILb1ELb0ELb0E19rocblas_complex_numIfEPKPS1_Li16ELi16EEviT3_ilPT2_i,comdat
.Lfunc_end25:
	.size	_ZL40rocblas_copy_triangular_syrk_herk_kernelILb1ELb0ELb0E19rocblas_complex_numIfEPKPS1_Li16ELi16EEviT3_ilPT2_i, .Lfunc_end25-_ZL40rocblas_copy_triangular_syrk_herk_kernelILb1ELb0ELb0E19rocblas_complex_numIfEPKPS1_Li16ELi16EEviT3_ilPT2_i
                                        ; -- End function
	.set _ZL40rocblas_copy_triangular_syrk_herk_kernelILb1ELb0ELb0E19rocblas_complex_numIfEPKPS1_Li16ELi16EEviT3_ilPT2_i.num_vgpr, 12
	.set _ZL40rocblas_copy_triangular_syrk_herk_kernelILb1ELb0ELb0E19rocblas_complex_numIfEPKPS1_Li16ELi16EEviT3_ilPT2_i.num_agpr, 0
	.set _ZL40rocblas_copy_triangular_syrk_herk_kernelILb1ELb0ELb0E19rocblas_complex_numIfEPKPS1_Li16ELi16EEviT3_ilPT2_i.numbered_sgpr, 20
	.set _ZL40rocblas_copy_triangular_syrk_herk_kernelILb1ELb0ELb0E19rocblas_complex_numIfEPKPS1_Li16ELi16EEviT3_ilPT2_i.num_named_barrier, 0
	.set _ZL40rocblas_copy_triangular_syrk_herk_kernelILb1ELb0ELb0E19rocblas_complex_numIfEPKPS1_Li16ELi16EEviT3_ilPT2_i.private_seg_size, 0
	.set _ZL40rocblas_copy_triangular_syrk_herk_kernelILb1ELb0ELb0E19rocblas_complex_numIfEPKPS1_Li16ELi16EEviT3_ilPT2_i.uses_vcc, 1
	.set _ZL40rocblas_copy_triangular_syrk_herk_kernelILb1ELb0ELb0E19rocblas_complex_numIfEPKPS1_Li16ELi16EEviT3_ilPT2_i.uses_flat_scratch, 0
	.set _ZL40rocblas_copy_triangular_syrk_herk_kernelILb1ELb0ELb0E19rocblas_complex_numIfEPKPS1_Li16ELi16EEviT3_ilPT2_i.has_dyn_sized_stack, 0
	.set _ZL40rocblas_copy_triangular_syrk_herk_kernelILb1ELb0ELb0E19rocblas_complex_numIfEPKPS1_Li16ELi16EEviT3_ilPT2_i.has_recursion, 0
	.set _ZL40rocblas_copy_triangular_syrk_herk_kernelILb1ELb0ELb0E19rocblas_complex_numIfEPKPS1_Li16ELi16EEviT3_ilPT2_i.has_indirect_call, 0
	.section	.AMDGPU.csdata,"",@progbits
; Kernel info:
; codeLenInByte = 528
; TotalNumSgprs: 22
; NumVgprs: 12
; ScratchSize: 0
; MemoryBound: 0
; FloatMode: 240
; IeeeMode: 1
; LDSByteSize: 0 bytes/workgroup (compile time only)
; SGPRBlocks: 0
; VGPRBlocks: 0
; NumSGPRsForWavesPerEU: 22
; NumVGPRsForWavesPerEU: 12
; NamedBarCnt: 0
; Occupancy: 16
; WaveLimiterHint : 1
; COMPUTE_PGM_RSRC2:SCRATCH_EN: 0
; COMPUTE_PGM_RSRC2:USER_SGPR: 2
; COMPUTE_PGM_RSRC2:TRAP_HANDLER: 0
; COMPUTE_PGM_RSRC2:TGID_X_EN: 1
; COMPUTE_PGM_RSRC2:TGID_Y_EN: 1
; COMPUTE_PGM_RSRC2:TGID_Z_EN: 1
; COMPUTE_PGM_RSRC2:TIDIG_COMP_CNT: 1
	.section	.text._ZL40rocblas_copy_triangular_syrk_herk_kernelILb0ELb1ELb0E19rocblas_complex_numIfEPKPS1_Li16ELi16EEviT3_ilPT2_i,"axG",@progbits,_ZL40rocblas_copy_triangular_syrk_herk_kernelILb0ELb1ELb0E19rocblas_complex_numIfEPKPS1_Li16ELi16EEviT3_ilPT2_i,comdat
	.globl	_ZL40rocblas_copy_triangular_syrk_herk_kernelILb0ELb1ELb0E19rocblas_complex_numIfEPKPS1_Li16ELi16EEviT3_ilPT2_i ; -- Begin function _ZL40rocblas_copy_triangular_syrk_herk_kernelILb0ELb1ELb0E19rocblas_complex_numIfEPKPS1_Li16ELi16EEviT3_ilPT2_i
	.p2align	8
	.type	_ZL40rocblas_copy_triangular_syrk_herk_kernelILb0ELb1ELb0E19rocblas_complex_numIfEPKPS1_Li16ELi16EEviT3_ilPT2_i,@function
_ZL40rocblas_copy_triangular_syrk_herk_kernelILb0ELb1ELb0E19rocblas_complex_numIfEPKPS1_Li16ELi16EEviT3_ilPT2_i: ; @_ZL40rocblas_copy_triangular_syrk_herk_kernelILb0ELb1ELb0E19rocblas_complex_numIfEPKPS1_Li16ELi16EEviT3_ilPT2_i
; %bb.0:
	s_load_b32 s7, s[0:1], 0x28
	s_bfe_u32 s2, ttmp6, 0x40014
	s_lshr_b32 s3, ttmp7, 16
	s_add_co_i32 s2, s2, 1
	s_bfe_u32 s4, ttmp6, 0x40008
	s_mul_i32 s2, s3, s2
	s_getreg_b32 s12, hwreg(HW_REG_IB_STS2, 6, 4)
	s_add_co_i32 s4, s4, s2
	s_cmp_eq_u32 s12, 0
	s_cselect_b32 s2, s3, s4
	s_mov_b32 s3, 0
	s_wait_kmcnt 0x0
	s_cmp_ge_u32 s2, s7
	s_cbranch_scc1 .LBB26_5
; %bb.1:
	s_clause 0x3
	s_load_b32 s14, s[0:1], 0x0
	s_load_b96 s[4:6], s[0:1], 0x8
	s_load_b64 s[8:9], s[0:1], 0x20
	s_load_b32 s16, s[0:1], 0x3c
	s_wait_xcnt 0x0
	s_bfe_u32 s0, ttmp6, 0x40010
	s_and_b32 s17, ttmp7, 0xffff
	s_add_co_i32 s0, s0, 1
	s_bfe_u32 s10, ttmp6, 0x40004
	s_bfe_u32 s11, ttmp6, 0x4000c
	s_mul_i32 s0, s17, s0
	s_add_co_i32 s11, s11, 1
	s_add_co_i32 s19, s10, s0
	s_mul_i32 s18, ttmp9, s11
	s_mov_b32 s1, s3
	s_and_b32 s13, ttmp6, 15
	v_bfe_u32 v1, v0, 10, 10
	s_add_co_i32 s18, s13, s18
	v_and_b32_e32 v2, 0x3ff, v0
	s_wait_kmcnt 0x0
	s_add_co_i32 s10, s14, -1
	s_ashr_i32 s15, s14, 31
	s_ashr_i32 s11, s10, 31
	;; [unrolled: 1-line block ×3, first 2 shown]
	s_mul_u64 s[10:11], s[10:11], s[14:15]
	s_lshr_b32 s15, s16, 16
	s_lshr_b32 s0, s11, 31
	s_and_b32 s16, s16, 0xffff
	s_add_nc_u64 s[0:1], s[10:11], s[0:1]
	s_delay_alu instid0(SALU_CYCLE_1) | instskip(SKIP_3) | instid1(SALU_CYCLE_1)
	s_ashr_i64 s[10:11], s[0:1], 1
	s_cmp_eq_u32 s12, 0
	s_mov_b32 s12, s6
	s_cselect_b32 s0, s17, s19
	v_mad_u32 v0, s0, s15, v1
	s_cselect_b32 s0, ttmp9, s18
	s_delay_alu instid0(SALU_CYCLE_1) | instskip(NEXT) | instid1(VALU_DEP_1)
	v_mad_u32 v6, s0, s16, v2
	v_dual_add_nc_u32 v1, -1, v0 :: v_dual_ashrrev_i32 v7, 31, v6
	v_cmp_gt_i32_e32 vcc_lo, v0, v6
	s_delay_alu instid0(VALU_DEP_2) | instskip(SKIP_1) | instid1(VALU_DEP_4)
	v_mul_lo_u32 v1, v1, v0
	v_max_i32_e32 v5, v0, v6
	v_mul_u64_e32 v[2:3], s[12:13], v[6:7]
	s_delay_alu instid0(VALU_DEP_2) | instskip(NEXT) | instid1(VALU_DEP_4)
	v_cmp_gt_i32_e64 s0, s14, v5
	v_lshrrev_b32_e32 v4, 31, v1
	s_and_b32 s0, vcc_lo, s0
	s_delay_alu instid0(VALU_DEP_1) | instskip(NEXT) | instid1(VALU_DEP_1)
	v_add_nc_u32_e32 v1, v1, v4
	v_ashrrev_i32_e32 v1, 1, v1
	s_delay_alu instid0(VALU_DEP_1) | instskip(NEXT) | instid1(VALU_DEP_1)
	v_dual_add_nc_u32 v4, v1, v6 :: v_dual_ashrrev_i32 v1, 31, v0
	v_dual_mov_b32 v6, 0 :: v_dual_ashrrev_i32 v5, 31, v4
	s_branch .LBB26_3
.LBB26_2:                               ;   in Loop: Header=BB26_3 Depth=1
	s_wait_xcnt 0x0
	s_or_b32 exec_lo, exec_lo, s1
	s_add_co_i32 s2, s2, 0x10000
	s_delay_alu instid0(SALU_CYCLE_1)
	s_cmp_lt_u32 s2, s7
	s_cbranch_scc0 .LBB26_5
.LBB26_3:                               ; =>This Inner Loop Header: Depth=1
	s_mul_u64 s[12:13], s[10:11], s[2:3]
	s_delay_alu instid0(SALU_CYCLE_1) | instskip(NEXT) | instid1(SALU_CYCLE_1)
	s_lshl_b64 s[12:13], s[12:13], 3
	s_add_nc_u64 s[8:9], s[8:9], s[12:13]
	s_and_saveexec_b32 s1, s0
	s_cbranch_execz .LBB26_2
; %bb.4:                                ;   in Loop: Header=BB26_3 Depth=1
	s_lshl_b64 s[12:13], s[2:3], 3
	v_lshl_add_u64 v[10:11], v[4:5], 3, s[8:9]
	s_add_nc_u64 s[12:13], s[4:5], s[12:13]
	global_load_b64 v[8:9], v6, s[12:13]
	global_load_b64 v[10:11], v[10:11], off
	s_wait_loadcnt 0x1
	v_lshl_add_u64 v[8:9], v[2:3], 3, v[8:9]
	s_delay_alu instid0(VALU_DEP_1)
	v_lshl_add_u64 v[8:9], v[0:1], 3, v[8:9]
	s_wait_loadcnt 0x0
	flat_store_b64 v[8:9], v[10:11]
	s_branch .LBB26_2
.LBB26_5:
	s_endpgm
	.section	.rodata,"a",@progbits
	.p2align	6, 0x0
	.amdhsa_kernel _ZL40rocblas_copy_triangular_syrk_herk_kernelILb0ELb1ELb0E19rocblas_complex_numIfEPKPS1_Li16ELi16EEviT3_ilPT2_i
		.amdhsa_group_segment_fixed_size 0
		.amdhsa_private_segment_fixed_size 0
		.amdhsa_kernarg_size 304
		.amdhsa_user_sgpr_count 2
		.amdhsa_user_sgpr_dispatch_ptr 0
		.amdhsa_user_sgpr_queue_ptr 0
		.amdhsa_user_sgpr_kernarg_segment_ptr 1
		.amdhsa_user_sgpr_dispatch_id 0
		.amdhsa_user_sgpr_kernarg_preload_length 0
		.amdhsa_user_sgpr_kernarg_preload_offset 0
		.amdhsa_user_sgpr_private_segment_size 0
		.amdhsa_wavefront_size32 1
		.amdhsa_uses_dynamic_stack 0
		.amdhsa_enable_private_segment 0
		.amdhsa_system_sgpr_workgroup_id_x 1
		.amdhsa_system_sgpr_workgroup_id_y 1
		.amdhsa_system_sgpr_workgroup_id_z 1
		.amdhsa_system_sgpr_workgroup_info 0
		.amdhsa_system_vgpr_workitem_id 1
		.amdhsa_next_free_vgpr 12
		.amdhsa_next_free_sgpr 20
		.amdhsa_named_barrier_count 0
		.amdhsa_reserve_vcc 1
		.amdhsa_float_round_mode_32 0
		.amdhsa_float_round_mode_16_64 0
		.amdhsa_float_denorm_mode_32 3
		.amdhsa_float_denorm_mode_16_64 3
		.amdhsa_fp16_overflow 0
		.amdhsa_memory_ordered 1
		.amdhsa_forward_progress 1
		.amdhsa_inst_pref_size 4
		.amdhsa_round_robin_scheduling 0
		.amdhsa_exception_fp_ieee_invalid_op 0
		.amdhsa_exception_fp_denorm_src 0
		.amdhsa_exception_fp_ieee_div_zero 0
		.amdhsa_exception_fp_ieee_overflow 0
		.amdhsa_exception_fp_ieee_underflow 0
		.amdhsa_exception_fp_ieee_inexact 0
		.amdhsa_exception_int_div_zero 0
	.end_amdhsa_kernel
	.section	.text._ZL40rocblas_copy_triangular_syrk_herk_kernelILb0ELb1ELb0E19rocblas_complex_numIfEPKPS1_Li16ELi16EEviT3_ilPT2_i,"axG",@progbits,_ZL40rocblas_copy_triangular_syrk_herk_kernelILb0ELb1ELb0E19rocblas_complex_numIfEPKPS1_Li16ELi16EEviT3_ilPT2_i,comdat
.Lfunc_end26:
	.size	_ZL40rocblas_copy_triangular_syrk_herk_kernelILb0ELb1ELb0E19rocblas_complex_numIfEPKPS1_Li16ELi16EEviT3_ilPT2_i, .Lfunc_end26-_ZL40rocblas_copy_triangular_syrk_herk_kernelILb0ELb1ELb0E19rocblas_complex_numIfEPKPS1_Li16ELi16EEviT3_ilPT2_i
                                        ; -- End function
	.set _ZL40rocblas_copy_triangular_syrk_herk_kernelILb0ELb1ELb0E19rocblas_complex_numIfEPKPS1_Li16ELi16EEviT3_ilPT2_i.num_vgpr, 12
	.set _ZL40rocblas_copy_triangular_syrk_herk_kernelILb0ELb1ELb0E19rocblas_complex_numIfEPKPS1_Li16ELi16EEviT3_ilPT2_i.num_agpr, 0
	.set _ZL40rocblas_copy_triangular_syrk_herk_kernelILb0ELb1ELb0E19rocblas_complex_numIfEPKPS1_Li16ELi16EEviT3_ilPT2_i.numbered_sgpr, 20
	.set _ZL40rocblas_copy_triangular_syrk_herk_kernelILb0ELb1ELb0E19rocblas_complex_numIfEPKPS1_Li16ELi16EEviT3_ilPT2_i.num_named_barrier, 0
	.set _ZL40rocblas_copy_triangular_syrk_herk_kernelILb0ELb1ELb0E19rocblas_complex_numIfEPKPS1_Li16ELi16EEviT3_ilPT2_i.private_seg_size, 0
	.set _ZL40rocblas_copy_triangular_syrk_herk_kernelILb0ELb1ELb0E19rocblas_complex_numIfEPKPS1_Li16ELi16EEviT3_ilPT2_i.uses_vcc, 1
	.set _ZL40rocblas_copy_triangular_syrk_herk_kernelILb0ELb1ELb0E19rocblas_complex_numIfEPKPS1_Li16ELi16EEviT3_ilPT2_i.uses_flat_scratch, 0
	.set _ZL40rocblas_copy_triangular_syrk_herk_kernelILb0ELb1ELb0E19rocblas_complex_numIfEPKPS1_Li16ELi16EEviT3_ilPT2_i.has_dyn_sized_stack, 0
	.set _ZL40rocblas_copy_triangular_syrk_herk_kernelILb0ELb1ELb0E19rocblas_complex_numIfEPKPS1_Li16ELi16EEviT3_ilPT2_i.has_recursion, 0
	.set _ZL40rocblas_copy_triangular_syrk_herk_kernelILb0ELb1ELb0E19rocblas_complex_numIfEPKPS1_Li16ELi16EEviT3_ilPT2_i.has_indirect_call, 0
	.section	.AMDGPU.csdata,"",@progbits
; Kernel info:
; codeLenInByte = 512
; TotalNumSgprs: 22
; NumVgprs: 12
; ScratchSize: 0
; MemoryBound: 0
; FloatMode: 240
; IeeeMode: 1
; LDSByteSize: 0 bytes/workgroup (compile time only)
; SGPRBlocks: 0
; VGPRBlocks: 0
; NumSGPRsForWavesPerEU: 22
; NumVGPRsForWavesPerEU: 12
; NamedBarCnt: 0
; Occupancy: 16
; WaveLimiterHint : 1
; COMPUTE_PGM_RSRC2:SCRATCH_EN: 0
; COMPUTE_PGM_RSRC2:USER_SGPR: 2
; COMPUTE_PGM_RSRC2:TRAP_HANDLER: 0
; COMPUTE_PGM_RSRC2:TGID_X_EN: 1
; COMPUTE_PGM_RSRC2:TGID_Y_EN: 1
; COMPUTE_PGM_RSRC2:TGID_Z_EN: 1
; COMPUTE_PGM_RSRC2:TIDIG_COMP_CNT: 1
	.section	.text._ZL40rocblas_copy_triangular_syrk_herk_kernelILb0ELb0ELb0E19rocblas_complex_numIfEPKPS1_Li16ELi16EEviT3_ilPT2_i,"axG",@progbits,_ZL40rocblas_copy_triangular_syrk_herk_kernelILb0ELb0ELb0E19rocblas_complex_numIfEPKPS1_Li16ELi16EEviT3_ilPT2_i,comdat
	.globl	_ZL40rocblas_copy_triangular_syrk_herk_kernelILb0ELb0ELb0E19rocblas_complex_numIfEPKPS1_Li16ELi16EEviT3_ilPT2_i ; -- Begin function _ZL40rocblas_copy_triangular_syrk_herk_kernelILb0ELb0ELb0E19rocblas_complex_numIfEPKPS1_Li16ELi16EEviT3_ilPT2_i
	.p2align	8
	.type	_ZL40rocblas_copy_triangular_syrk_herk_kernelILb0ELb0ELb0E19rocblas_complex_numIfEPKPS1_Li16ELi16EEviT3_ilPT2_i,@function
_ZL40rocblas_copy_triangular_syrk_herk_kernelILb0ELb0ELb0E19rocblas_complex_numIfEPKPS1_Li16ELi16EEviT3_ilPT2_i: ; @_ZL40rocblas_copy_triangular_syrk_herk_kernelILb0ELb0ELb0E19rocblas_complex_numIfEPKPS1_Li16ELi16EEviT3_ilPT2_i
; %bb.0:
	s_load_b32 s7, s[0:1], 0x28
	s_bfe_u32 s2, ttmp6, 0x40014
	s_lshr_b32 s3, ttmp7, 16
	s_add_co_i32 s2, s2, 1
	s_bfe_u32 s4, ttmp6, 0x40008
	s_mul_i32 s2, s3, s2
	s_getreg_b32 s12, hwreg(HW_REG_IB_STS2, 6, 4)
	s_add_co_i32 s4, s4, s2
	s_cmp_eq_u32 s12, 0
	s_cselect_b32 s2, s3, s4
	s_mov_b32 s3, 0
	s_wait_kmcnt 0x0
	s_cmp_ge_u32 s2, s7
	s_cbranch_scc1 .LBB27_5
; %bb.1:
	s_clause 0x3
	s_load_b32 s14, s[0:1], 0x0
	s_load_b96 s[4:6], s[0:1], 0x8
	s_load_b64 s[8:9], s[0:1], 0x20
	s_load_b32 s16, s[0:1], 0x3c
	s_wait_xcnt 0x0
	s_bfe_u32 s0, ttmp6, 0x40010
	s_and_b32 s17, ttmp7, 0xffff
	s_add_co_i32 s0, s0, 1
	s_bfe_u32 s10, ttmp6, 0x40004
	s_bfe_u32 s11, ttmp6, 0x4000c
	s_mul_i32 s0, s17, s0
	s_add_co_i32 s11, s11, 1
	s_add_co_i32 s19, s10, s0
	s_mul_i32 s18, ttmp9, s11
	s_mov_b32 s1, s3
	s_and_b32 s13, ttmp6, 15
	v_bfe_u32 v1, v0, 10, 10
	s_add_co_i32 s18, s13, s18
	v_and_b32_e32 v0, 0x3ff, v0
	s_wait_kmcnt 0x0
	s_add_co_i32 s10, s14, -1
	s_ashr_i32 s15, s14, 31
	s_ashr_i32 s11, s10, 31
	;; [unrolled: 1-line block ×3, first 2 shown]
	s_mul_u64 s[10:11], s[10:11], s[14:15]
	s_lshr_b32 s15, s16, 16
	s_lshr_b32 s0, s11, 31
	s_and_b32 s16, s16, 0xffff
	s_add_nc_u64 s[0:1], s[10:11], s[0:1]
	s_delay_alu instid0(SALU_CYCLE_1) | instskip(SKIP_3) | instid1(SALU_CYCLE_1)
	s_ashr_i64 s[10:11], s[0:1], 1
	s_cmp_eq_u32 s12, 0
	s_mov_b32 s12, s6
	s_cselect_b32 s0, s17, s19
	v_mad_u32 v2, s0, s15, v1
	s_cselect_b32 s0, ttmp9, s18
	s_delay_alu instid0(SALU_CYCLE_1) | instskip(NEXT) | instid1(VALU_DEP_2)
	v_mad_u32 v6, s0, s16, v0
	v_not_b32_e32 v3, v2
	s_delay_alu instid0(VALU_DEP_2) | instskip(NEXT) | instid1(VALU_DEP_2)
	v_cmp_lt_i32_e32 vcc_lo, v2, v6
	v_lshl_add_u32 v0, s14, 1, v3
	s_delay_alu instid0(VALU_DEP_1) | instskip(NEXT) | instid1(VALU_DEP_1)
	v_mul_lo_u32 v4, v0, v2
	v_dual_ashrrev_i32 v7, 31, v6 :: v_dual_lshrrev_b32 v5, 31, v4
	s_delay_alu instid0(VALU_DEP_1) | instskip(NEXT) | instid1(VALU_DEP_2)
	v_mul_u64_e32 v[0:1], s[12:13], v[6:7]
	v_dual_add_nc_u32 v4, v4, v5 :: v_dual_max_i32 v5, v2, v6
	s_delay_alu instid0(VALU_DEP_1) | instskip(NEXT) | instid1(VALU_DEP_2)
	v_ashrrev_i32_e32 v4, 1, v4
	v_cmp_gt_i32_e64 s0, s14, v5
	s_delay_alu instid0(VALU_DEP_2) | instskip(SKIP_2) | instid1(VALU_DEP_2)
	v_add3_u32 v4, v6, v3, v4
	v_ashrrev_i32_e32 v3, 31, v2
	s_and_b32 s0, vcc_lo, s0
	v_dual_mov_b32 v6, 0 :: v_dual_ashrrev_i32 v5, 31, v4
	s_branch .LBB27_3
.LBB27_2:                               ;   in Loop: Header=BB27_3 Depth=1
	s_wait_xcnt 0x0
	s_or_b32 exec_lo, exec_lo, s1
	s_add_co_i32 s2, s2, 0x10000
	s_delay_alu instid0(SALU_CYCLE_1)
	s_cmp_lt_u32 s2, s7
	s_cbranch_scc0 .LBB27_5
.LBB27_3:                               ; =>This Inner Loop Header: Depth=1
	s_mul_u64 s[12:13], s[10:11], s[2:3]
	s_delay_alu instid0(SALU_CYCLE_1) | instskip(NEXT) | instid1(SALU_CYCLE_1)
	s_lshl_b64 s[12:13], s[12:13], 3
	s_add_nc_u64 s[8:9], s[8:9], s[12:13]
	s_and_saveexec_b32 s1, s0
	s_cbranch_execz .LBB27_2
; %bb.4:                                ;   in Loop: Header=BB27_3 Depth=1
	s_lshl_b64 s[12:13], s[2:3], 3
	v_lshl_add_u64 v[10:11], v[4:5], 3, s[8:9]
	s_add_nc_u64 s[12:13], s[4:5], s[12:13]
	global_load_b64 v[8:9], v6, s[12:13]
	global_load_b64 v[10:11], v[10:11], off
	s_wait_loadcnt 0x1
	v_lshl_add_u64 v[8:9], v[0:1], 3, v[8:9]
	s_delay_alu instid0(VALU_DEP_1)
	v_lshl_add_u64 v[8:9], v[2:3], 3, v[8:9]
	s_wait_loadcnt 0x0
	flat_store_b64 v[8:9], v[10:11]
	s_branch .LBB27_2
.LBB27_5:
	s_endpgm
	.section	.rodata,"a",@progbits
	.p2align	6, 0x0
	.amdhsa_kernel _ZL40rocblas_copy_triangular_syrk_herk_kernelILb0ELb0ELb0E19rocblas_complex_numIfEPKPS1_Li16ELi16EEviT3_ilPT2_i
		.amdhsa_group_segment_fixed_size 0
		.amdhsa_private_segment_fixed_size 0
		.amdhsa_kernarg_size 304
		.amdhsa_user_sgpr_count 2
		.amdhsa_user_sgpr_dispatch_ptr 0
		.amdhsa_user_sgpr_queue_ptr 0
		.amdhsa_user_sgpr_kernarg_segment_ptr 1
		.amdhsa_user_sgpr_dispatch_id 0
		.amdhsa_user_sgpr_kernarg_preload_length 0
		.amdhsa_user_sgpr_kernarg_preload_offset 0
		.amdhsa_user_sgpr_private_segment_size 0
		.amdhsa_wavefront_size32 1
		.amdhsa_uses_dynamic_stack 0
		.amdhsa_enable_private_segment 0
		.amdhsa_system_sgpr_workgroup_id_x 1
		.amdhsa_system_sgpr_workgroup_id_y 1
		.amdhsa_system_sgpr_workgroup_id_z 1
		.amdhsa_system_sgpr_workgroup_info 0
		.amdhsa_system_vgpr_workitem_id 1
		.amdhsa_next_free_vgpr 12
		.amdhsa_next_free_sgpr 20
		.amdhsa_named_barrier_count 0
		.amdhsa_reserve_vcc 1
		.amdhsa_float_round_mode_32 0
		.amdhsa_float_round_mode_16_64 0
		.amdhsa_float_denorm_mode_32 3
		.amdhsa_float_denorm_mode_16_64 3
		.amdhsa_fp16_overflow 0
		.amdhsa_memory_ordered 1
		.amdhsa_forward_progress 1
		.amdhsa_inst_pref_size 5
		.amdhsa_round_robin_scheduling 0
		.amdhsa_exception_fp_ieee_invalid_op 0
		.amdhsa_exception_fp_denorm_src 0
		.amdhsa_exception_fp_ieee_div_zero 0
		.amdhsa_exception_fp_ieee_overflow 0
		.amdhsa_exception_fp_ieee_underflow 0
		.amdhsa_exception_fp_ieee_inexact 0
		.amdhsa_exception_int_div_zero 0
	.end_amdhsa_kernel
	.section	.text._ZL40rocblas_copy_triangular_syrk_herk_kernelILb0ELb0ELb0E19rocblas_complex_numIfEPKPS1_Li16ELi16EEviT3_ilPT2_i,"axG",@progbits,_ZL40rocblas_copy_triangular_syrk_herk_kernelILb0ELb0ELb0E19rocblas_complex_numIfEPKPS1_Li16ELi16EEviT3_ilPT2_i,comdat
.Lfunc_end27:
	.size	_ZL40rocblas_copy_triangular_syrk_herk_kernelILb0ELb0ELb0E19rocblas_complex_numIfEPKPS1_Li16ELi16EEviT3_ilPT2_i, .Lfunc_end27-_ZL40rocblas_copy_triangular_syrk_herk_kernelILb0ELb0ELb0E19rocblas_complex_numIfEPKPS1_Li16ELi16EEviT3_ilPT2_i
                                        ; -- End function
	.set _ZL40rocblas_copy_triangular_syrk_herk_kernelILb0ELb0ELb0E19rocblas_complex_numIfEPKPS1_Li16ELi16EEviT3_ilPT2_i.num_vgpr, 12
	.set _ZL40rocblas_copy_triangular_syrk_herk_kernelILb0ELb0ELb0E19rocblas_complex_numIfEPKPS1_Li16ELi16EEviT3_ilPT2_i.num_agpr, 0
	.set _ZL40rocblas_copy_triangular_syrk_herk_kernelILb0ELb0ELb0E19rocblas_complex_numIfEPKPS1_Li16ELi16EEviT3_ilPT2_i.numbered_sgpr, 20
	.set _ZL40rocblas_copy_triangular_syrk_herk_kernelILb0ELb0ELb0E19rocblas_complex_numIfEPKPS1_Li16ELi16EEviT3_ilPT2_i.num_named_barrier, 0
	.set _ZL40rocblas_copy_triangular_syrk_herk_kernelILb0ELb0ELb0E19rocblas_complex_numIfEPKPS1_Li16ELi16EEviT3_ilPT2_i.private_seg_size, 0
	.set _ZL40rocblas_copy_triangular_syrk_herk_kernelILb0ELb0ELb0E19rocblas_complex_numIfEPKPS1_Li16ELi16EEviT3_ilPT2_i.uses_vcc, 1
	.set _ZL40rocblas_copy_triangular_syrk_herk_kernelILb0ELb0ELb0E19rocblas_complex_numIfEPKPS1_Li16ELi16EEviT3_ilPT2_i.uses_flat_scratch, 0
	.set _ZL40rocblas_copy_triangular_syrk_herk_kernelILb0ELb0ELb0E19rocblas_complex_numIfEPKPS1_Li16ELi16EEviT3_ilPT2_i.has_dyn_sized_stack, 0
	.set _ZL40rocblas_copy_triangular_syrk_herk_kernelILb0ELb0ELb0E19rocblas_complex_numIfEPKPS1_Li16ELi16EEviT3_ilPT2_i.has_recursion, 0
	.set _ZL40rocblas_copy_triangular_syrk_herk_kernelILb0ELb0ELb0E19rocblas_complex_numIfEPKPS1_Li16ELi16EEviT3_ilPT2_i.has_indirect_call, 0
	.section	.AMDGPU.csdata,"",@progbits
; Kernel info:
; codeLenInByte = 528
; TotalNumSgprs: 22
; NumVgprs: 12
; ScratchSize: 0
; MemoryBound: 0
; FloatMode: 240
; IeeeMode: 1
; LDSByteSize: 0 bytes/workgroup (compile time only)
; SGPRBlocks: 0
; VGPRBlocks: 0
; NumSGPRsForWavesPerEU: 22
; NumVGPRsForWavesPerEU: 12
; NamedBarCnt: 0
; Occupancy: 16
; WaveLimiterHint : 1
; COMPUTE_PGM_RSRC2:SCRATCH_EN: 0
; COMPUTE_PGM_RSRC2:USER_SGPR: 2
; COMPUTE_PGM_RSRC2:TRAP_HANDLER: 0
; COMPUTE_PGM_RSRC2:TGID_X_EN: 1
; COMPUTE_PGM_RSRC2:TGID_Y_EN: 1
; COMPUTE_PGM_RSRC2:TGID_Z_EN: 1
; COMPUTE_PGM_RSRC2:TIDIG_COMP_CNT: 1
	.section	.text._ZL40rocblas_copy_triangular_syrk_herk_kernelILb1ELb1ELb0E19rocblas_complex_numIdEPKPS1_Li16ELi16EEviT3_ilPT2_i,"axG",@progbits,_ZL40rocblas_copy_triangular_syrk_herk_kernelILb1ELb1ELb0E19rocblas_complex_numIdEPKPS1_Li16ELi16EEviT3_ilPT2_i,comdat
	.globl	_ZL40rocblas_copy_triangular_syrk_herk_kernelILb1ELb1ELb0E19rocblas_complex_numIdEPKPS1_Li16ELi16EEviT3_ilPT2_i ; -- Begin function _ZL40rocblas_copy_triangular_syrk_herk_kernelILb1ELb1ELb0E19rocblas_complex_numIdEPKPS1_Li16ELi16EEviT3_ilPT2_i
	.p2align	8
	.type	_ZL40rocblas_copy_triangular_syrk_herk_kernelILb1ELb1ELb0E19rocblas_complex_numIdEPKPS1_Li16ELi16EEviT3_ilPT2_i,@function
_ZL40rocblas_copy_triangular_syrk_herk_kernelILb1ELb1ELb0E19rocblas_complex_numIdEPKPS1_Li16ELi16EEviT3_ilPT2_i: ; @_ZL40rocblas_copy_triangular_syrk_herk_kernelILb1ELb1ELb0E19rocblas_complex_numIdEPKPS1_Li16ELi16EEviT3_ilPT2_i
; %bb.0:
	s_load_b32 s7, s[0:1], 0x28
	s_bfe_u32 s2, ttmp6, 0x40014
	s_lshr_b32 s3, ttmp7, 16
	s_add_co_i32 s2, s2, 1
	s_bfe_u32 s4, ttmp6, 0x40008
	s_mul_i32 s2, s3, s2
	s_getreg_b32 s12, hwreg(HW_REG_IB_STS2, 6, 4)
	s_add_co_i32 s4, s4, s2
	s_cmp_eq_u32 s12, 0
	s_cselect_b32 s2, s3, s4
	s_mov_b32 s3, 0
	s_wait_kmcnt 0x0
	s_cmp_ge_u32 s2, s7
	s_cbranch_scc1 .LBB28_5
; %bb.1:
	s_clause 0x3
	s_load_b32 s14, s[0:1], 0x0
	s_load_b96 s[4:6], s[0:1], 0x8
	s_load_b64 s[8:9], s[0:1], 0x20
	s_load_b32 s16, s[0:1], 0x3c
	s_wait_xcnt 0x0
	s_bfe_u32 s0, ttmp6, 0x40010
	s_and_b32 s17, ttmp7, 0xffff
	s_add_co_i32 s0, s0, 1
	s_bfe_u32 s10, ttmp6, 0x40004
	s_bfe_u32 s11, ttmp6, 0x4000c
	s_mul_i32 s0, s17, s0
	s_add_co_i32 s11, s11, 1
	s_add_co_i32 s19, s10, s0
	s_mul_i32 s18, ttmp9, s11
	s_mov_b32 s1, s3
	s_and_b32 s13, ttmp6, 15
	v_bfe_u32 v1, v0, 10, 10
	s_add_co_i32 s18, s13, s18
	v_and_b32_e32 v2, 0x3ff, v0
	s_wait_kmcnt 0x0
	s_add_co_i32 s10, s14, -1
	s_ashr_i32 s15, s14, 31
	s_ashr_i32 s11, s10, 31
	;; [unrolled: 1-line block ×3, first 2 shown]
	s_mul_u64 s[10:11], s[10:11], s[14:15]
	s_lshr_b32 s15, s16, 16
	s_lshr_b32 s0, s11, 31
	s_and_b32 s16, s16, 0xffff
	s_add_nc_u64 s[0:1], s[10:11], s[0:1]
	s_delay_alu instid0(SALU_CYCLE_1) | instskip(SKIP_3) | instid1(SALU_CYCLE_1)
	s_ashr_i64 s[10:11], s[0:1], 1
	s_cmp_eq_u32 s12, 0
	s_mov_b32 s12, s6
	s_cselect_b32 s0, s17, s19
	v_mad_u32 v0, s0, s15, v1
	s_cselect_b32 s0, ttmp9, s18
	s_delay_alu instid0(SALU_CYCLE_1) | instskip(NEXT) | instid1(VALU_DEP_1)
	v_mad_u32 v6, s0, s16, v2
	v_dual_add_nc_u32 v1, -1, v0 :: v_dual_ashrrev_i32 v7, 31, v6
	v_cmp_gt_i32_e32 vcc_lo, v0, v6
	s_delay_alu instid0(VALU_DEP_2) | instskip(SKIP_1) | instid1(VALU_DEP_4)
	v_mul_lo_u32 v1, v1, v0
	v_max_i32_e32 v5, v0, v6
	v_mul_u64_e32 v[2:3], s[12:13], v[6:7]
	s_delay_alu instid0(VALU_DEP_2) | instskip(NEXT) | instid1(VALU_DEP_4)
	v_cmp_gt_i32_e64 s0, s14, v5
	v_lshrrev_b32_e32 v4, 31, v1
	s_and_b32 s0, vcc_lo, s0
	s_delay_alu instid0(VALU_DEP_1) | instskip(NEXT) | instid1(VALU_DEP_1)
	v_add_nc_u32_e32 v1, v1, v4
	v_ashrrev_i32_e32 v1, 1, v1
	s_delay_alu instid0(VALU_DEP_1) | instskip(NEXT) | instid1(VALU_DEP_1)
	v_dual_add_nc_u32 v4, v1, v6 :: v_dual_ashrrev_i32 v1, 31, v0
	v_dual_mov_b32 v6, 0 :: v_dual_ashrrev_i32 v5, 31, v4
	s_branch .LBB28_3
.LBB28_2:                               ;   in Loop: Header=BB28_3 Depth=1
	s_wait_xcnt 0x0
	s_or_b32 exec_lo, exec_lo, s1
	s_add_co_i32 s2, s2, 0x10000
	s_delay_alu instid0(SALU_CYCLE_1)
	s_cmp_lt_u32 s2, s7
	s_cbranch_scc0 .LBB28_5
.LBB28_3:                               ; =>This Inner Loop Header: Depth=1
	s_mul_u64 s[12:13], s[10:11], s[2:3]
	s_delay_alu instid0(SALU_CYCLE_1) | instskip(NEXT) | instid1(SALU_CYCLE_1)
	s_lshl_b64 s[12:13], s[12:13], 4
	s_add_nc_u64 s[8:9], s[8:9], s[12:13]
	s_and_saveexec_b32 s1, s0
	s_cbranch_execz .LBB28_2
; %bb.4:                                ;   in Loop: Header=BB28_3 Depth=1
	s_lshl_b64 s[12:13], s[2:3], 3
	v_lshl_add_u64 v[12:13], v[4:5], 4, s[8:9]
	s_add_nc_u64 s[12:13], s[4:5], s[12:13]
	global_load_b64 v[8:9], v6, s[12:13]
	s_wait_loadcnt 0x0
	v_lshl_add_u64 v[8:9], v[2:3], 4, v[8:9]
	s_delay_alu instid0(VALU_DEP_1)
	v_lshl_add_u64 v[8:9], v[0:1], 4, v[8:9]
	flat_load_b128 v[8:11], v[8:9]
	s_wait_loadcnt_dscnt 0x0
	global_store_b128 v[12:13], v[8:11], off
	s_branch .LBB28_2
.LBB28_5:
	s_endpgm
	.section	.rodata,"a",@progbits
	.p2align	6, 0x0
	.amdhsa_kernel _ZL40rocblas_copy_triangular_syrk_herk_kernelILb1ELb1ELb0E19rocblas_complex_numIdEPKPS1_Li16ELi16EEviT3_ilPT2_i
		.amdhsa_group_segment_fixed_size 0
		.amdhsa_private_segment_fixed_size 0
		.amdhsa_kernarg_size 304
		.amdhsa_user_sgpr_count 2
		.amdhsa_user_sgpr_dispatch_ptr 0
		.amdhsa_user_sgpr_queue_ptr 0
		.amdhsa_user_sgpr_kernarg_segment_ptr 1
		.amdhsa_user_sgpr_dispatch_id 0
		.amdhsa_user_sgpr_kernarg_preload_length 0
		.amdhsa_user_sgpr_kernarg_preload_offset 0
		.amdhsa_user_sgpr_private_segment_size 0
		.amdhsa_wavefront_size32 1
		.amdhsa_uses_dynamic_stack 0
		.amdhsa_enable_private_segment 0
		.amdhsa_system_sgpr_workgroup_id_x 1
		.amdhsa_system_sgpr_workgroup_id_y 1
		.amdhsa_system_sgpr_workgroup_id_z 1
		.amdhsa_system_sgpr_workgroup_info 0
		.amdhsa_system_vgpr_workitem_id 1
		.amdhsa_next_free_vgpr 14
		.amdhsa_next_free_sgpr 20
		.amdhsa_named_barrier_count 0
		.amdhsa_reserve_vcc 1
		.amdhsa_float_round_mode_32 0
		.amdhsa_float_round_mode_16_64 0
		.amdhsa_float_denorm_mode_32 3
		.amdhsa_float_denorm_mode_16_64 3
		.amdhsa_fp16_overflow 0
		.amdhsa_memory_ordered 1
		.amdhsa_forward_progress 1
		.amdhsa_inst_pref_size 4
		.amdhsa_round_robin_scheduling 0
		.amdhsa_exception_fp_ieee_invalid_op 0
		.amdhsa_exception_fp_denorm_src 0
		.amdhsa_exception_fp_ieee_div_zero 0
		.amdhsa_exception_fp_ieee_overflow 0
		.amdhsa_exception_fp_ieee_underflow 0
		.amdhsa_exception_fp_ieee_inexact 0
		.amdhsa_exception_int_div_zero 0
	.end_amdhsa_kernel
	.section	.text._ZL40rocblas_copy_triangular_syrk_herk_kernelILb1ELb1ELb0E19rocblas_complex_numIdEPKPS1_Li16ELi16EEviT3_ilPT2_i,"axG",@progbits,_ZL40rocblas_copy_triangular_syrk_herk_kernelILb1ELb1ELb0E19rocblas_complex_numIdEPKPS1_Li16ELi16EEviT3_ilPT2_i,comdat
.Lfunc_end28:
	.size	_ZL40rocblas_copy_triangular_syrk_herk_kernelILb1ELb1ELb0E19rocblas_complex_numIdEPKPS1_Li16ELi16EEviT3_ilPT2_i, .Lfunc_end28-_ZL40rocblas_copy_triangular_syrk_herk_kernelILb1ELb1ELb0E19rocblas_complex_numIdEPKPS1_Li16ELi16EEviT3_ilPT2_i
                                        ; -- End function
	.set _ZL40rocblas_copy_triangular_syrk_herk_kernelILb1ELb1ELb0E19rocblas_complex_numIdEPKPS1_Li16ELi16EEviT3_ilPT2_i.num_vgpr, 14
	.set _ZL40rocblas_copy_triangular_syrk_herk_kernelILb1ELb1ELb0E19rocblas_complex_numIdEPKPS1_Li16ELi16EEviT3_ilPT2_i.num_agpr, 0
	.set _ZL40rocblas_copy_triangular_syrk_herk_kernelILb1ELb1ELb0E19rocblas_complex_numIdEPKPS1_Li16ELi16EEviT3_ilPT2_i.numbered_sgpr, 20
	.set _ZL40rocblas_copy_triangular_syrk_herk_kernelILb1ELb1ELb0E19rocblas_complex_numIdEPKPS1_Li16ELi16EEviT3_ilPT2_i.num_named_barrier, 0
	.set _ZL40rocblas_copy_triangular_syrk_herk_kernelILb1ELb1ELb0E19rocblas_complex_numIdEPKPS1_Li16ELi16EEviT3_ilPT2_i.private_seg_size, 0
	.set _ZL40rocblas_copy_triangular_syrk_herk_kernelILb1ELb1ELb0E19rocblas_complex_numIdEPKPS1_Li16ELi16EEviT3_ilPT2_i.uses_vcc, 1
	.set _ZL40rocblas_copy_triangular_syrk_herk_kernelILb1ELb1ELb0E19rocblas_complex_numIdEPKPS1_Li16ELi16EEviT3_ilPT2_i.uses_flat_scratch, 0
	.set _ZL40rocblas_copy_triangular_syrk_herk_kernelILb1ELb1ELb0E19rocblas_complex_numIdEPKPS1_Li16ELi16EEviT3_ilPT2_i.has_dyn_sized_stack, 0
	.set _ZL40rocblas_copy_triangular_syrk_herk_kernelILb1ELb1ELb0E19rocblas_complex_numIdEPKPS1_Li16ELi16EEviT3_ilPT2_i.has_recursion, 0
	.set _ZL40rocblas_copy_triangular_syrk_herk_kernelILb1ELb1ELb0E19rocblas_complex_numIdEPKPS1_Li16ELi16EEviT3_ilPT2_i.has_indirect_call, 0
	.section	.AMDGPU.csdata,"",@progbits
; Kernel info:
; codeLenInByte = 512
; TotalNumSgprs: 22
; NumVgprs: 14
; ScratchSize: 0
; MemoryBound: 0
; FloatMode: 240
; IeeeMode: 1
; LDSByteSize: 0 bytes/workgroup (compile time only)
; SGPRBlocks: 0
; VGPRBlocks: 0
; NumSGPRsForWavesPerEU: 22
; NumVGPRsForWavesPerEU: 14
; NamedBarCnt: 0
; Occupancy: 16
; WaveLimiterHint : 0
; COMPUTE_PGM_RSRC2:SCRATCH_EN: 0
; COMPUTE_PGM_RSRC2:USER_SGPR: 2
; COMPUTE_PGM_RSRC2:TRAP_HANDLER: 0
; COMPUTE_PGM_RSRC2:TGID_X_EN: 1
; COMPUTE_PGM_RSRC2:TGID_Y_EN: 1
; COMPUTE_PGM_RSRC2:TGID_Z_EN: 1
; COMPUTE_PGM_RSRC2:TIDIG_COMP_CNT: 1
	.section	.text._ZL40rocblas_copy_triangular_syrk_herk_kernelILb1ELb0ELb0E19rocblas_complex_numIdEPKPS1_Li16ELi16EEviT3_ilPT2_i,"axG",@progbits,_ZL40rocblas_copy_triangular_syrk_herk_kernelILb1ELb0ELb0E19rocblas_complex_numIdEPKPS1_Li16ELi16EEviT3_ilPT2_i,comdat
	.globl	_ZL40rocblas_copy_triangular_syrk_herk_kernelILb1ELb0ELb0E19rocblas_complex_numIdEPKPS1_Li16ELi16EEviT3_ilPT2_i ; -- Begin function _ZL40rocblas_copy_triangular_syrk_herk_kernelILb1ELb0ELb0E19rocblas_complex_numIdEPKPS1_Li16ELi16EEviT3_ilPT2_i
	.p2align	8
	.type	_ZL40rocblas_copy_triangular_syrk_herk_kernelILb1ELb0ELb0E19rocblas_complex_numIdEPKPS1_Li16ELi16EEviT3_ilPT2_i,@function
_ZL40rocblas_copy_triangular_syrk_herk_kernelILb1ELb0ELb0E19rocblas_complex_numIdEPKPS1_Li16ELi16EEviT3_ilPT2_i: ; @_ZL40rocblas_copy_triangular_syrk_herk_kernelILb1ELb0ELb0E19rocblas_complex_numIdEPKPS1_Li16ELi16EEviT3_ilPT2_i
; %bb.0:
	s_load_b32 s7, s[0:1], 0x28
	s_bfe_u32 s2, ttmp6, 0x40014
	s_lshr_b32 s3, ttmp7, 16
	s_add_co_i32 s2, s2, 1
	s_bfe_u32 s4, ttmp6, 0x40008
	s_mul_i32 s2, s3, s2
	s_getreg_b32 s12, hwreg(HW_REG_IB_STS2, 6, 4)
	s_add_co_i32 s4, s4, s2
	s_cmp_eq_u32 s12, 0
	s_cselect_b32 s2, s3, s4
	s_mov_b32 s3, 0
	s_wait_kmcnt 0x0
	s_cmp_ge_u32 s2, s7
	s_cbranch_scc1 .LBB29_5
; %bb.1:
	s_clause 0x3
	s_load_b32 s14, s[0:1], 0x0
	s_load_b96 s[4:6], s[0:1], 0x8
	s_load_b64 s[8:9], s[0:1], 0x20
	s_load_b32 s16, s[0:1], 0x3c
	s_wait_xcnt 0x0
	s_bfe_u32 s0, ttmp6, 0x40010
	s_and_b32 s17, ttmp7, 0xffff
	s_add_co_i32 s0, s0, 1
	s_bfe_u32 s10, ttmp6, 0x40004
	s_bfe_u32 s11, ttmp6, 0x4000c
	s_mul_i32 s0, s17, s0
	s_add_co_i32 s11, s11, 1
	s_add_co_i32 s19, s10, s0
	s_mul_i32 s18, ttmp9, s11
	s_mov_b32 s1, s3
	s_and_b32 s13, ttmp6, 15
	v_bfe_u32 v1, v0, 10, 10
	s_add_co_i32 s18, s13, s18
	v_and_b32_e32 v0, 0x3ff, v0
	s_wait_kmcnt 0x0
	s_add_co_i32 s10, s14, -1
	s_ashr_i32 s15, s14, 31
	s_ashr_i32 s11, s10, 31
	;; [unrolled: 1-line block ×3, first 2 shown]
	s_mul_u64 s[10:11], s[10:11], s[14:15]
	s_lshr_b32 s15, s16, 16
	s_lshr_b32 s0, s11, 31
	s_and_b32 s16, s16, 0xffff
	s_add_nc_u64 s[0:1], s[10:11], s[0:1]
	s_delay_alu instid0(SALU_CYCLE_1) | instskip(SKIP_3) | instid1(SALU_CYCLE_1)
	s_ashr_i64 s[10:11], s[0:1], 1
	s_cmp_eq_u32 s12, 0
	s_mov_b32 s12, s6
	s_cselect_b32 s0, s17, s19
	v_mad_u32 v2, s0, s15, v1
	s_cselect_b32 s0, ttmp9, s18
	s_delay_alu instid0(SALU_CYCLE_1) | instskip(NEXT) | instid1(VALU_DEP_2)
	v_mad_u32 v6, s0, s16, v0
	v_not_b32_e32 v3, v2
	s_delay_alu instid0(VALU_DEP_2) | instskip(NEXT) | instid1(VALU_DEP_2)
	v_cmp_lt_i32_e32 vcc_lo, v2, v6
	v_lshl_add_u32 v0, s14, 1, v3
	s_delay_alu instid0(VALU_DEP_1) | instskip(NEXT) | instid1(VALU_DEP_1)
	v_mul_lo_u32 v4, v0, v2
	v_dual_ashrrev_i32 v7, 31, v6 :: v_dual_lshrrev_b32 v5, 31, v4
	s_delay_alu instid0(VALU_DEP_1) | instskip(NEXT) | instid1(VALU_DEP_2)
	v_mul_u64_e32 v[0:1], s[12:13], v[6:7]
	v_dual_add_nc_u32 v4, v4, v5 :: v_dual_max_i32 v5, v2, v6
	s_delay_alu instid0(VALU_DEP_1) | instskip(NEXT) | instid1(VALU_DEP_2)
	v_ashrrev_i32_e32 v4, 1, v4
	v_cmp_gt_i32_e64 s0, s14, v5
	s_delay_alu instid0(VALU_DEP_2) | instskip(SKIP_2) | instid1(VALU_DEP_2)
	v_add3_u32 v4, v6, v3, v4
	v_ashrrev_i32_e32 v3, 31, v2
	s_and_b32 s0, vcc_lo, s0
	v_dual_mov_b32 v6, 0 :: v_dual_ashrrev_i32 v5, 31, v4
	s_branch .LBB29_3
.LBB29_2:                               ;   in Loop: Header=BB29_3 Depth=1
	s_wait_xcnt 0x0
	s_or_b32 exec_lo, exec_lo, s1
	s_add_co_i32 s2, s2, 0x10000
	s_delay_alu instid0(SALU_CYCLE_1)
	s_cmp_lt_u32 s2, s7
	s_cbranch_scc0 .LBB29_5
.LBB29_3:                               ; =>This Inner Loop Header: Depth=1
	s_mul_u64 s[12:13], s[10:11], s[2:3]
	s_delay_alu instid0(SALU_CYCLE_1) | instskip(NEXT) | instid1(SALU_CYCLE_1)
	s_lshl_b64 s[12:13], s[12:13], 4
	s_add_nc_u64 s[8:9], s[8:9], s[12:13]
	s_and_saveexec_b32 s1, s0
	s_cbranch_execz .LBB29_2
; %bb.4:                                ;   in Loop: Header=BB29_3 Depth=1
	s_lshl_b64 s[12:13], s[2:3], 3
	v_lshl_add_u64 v[12:13], v[4:5], 4, s[8:9]
	s_add_nc_u64 s[12:13], s[4:5], s[12:13]
	global_load_b64 v[8:9], v6, s[12:13]
	s_wait_loadcnt 0x0
	v_lshl_add_u64 v[8:9], v[0:1], 4, v[8:9]
	s_delay_alu instid0(VALU_DEP_1)
	v_lshl_add_u64 v[8:9], v[2:3], 4, v[8:9]
	flat_load_b128 v[8:11], v[8:9]
	s_wait_loadcnt_dscnt 0x0
	global_store_b128 v[12:13], v[8:11], off
	s_branch .LBB29_2
.LBB29_5:
	s_endpgm
	.section	.rodata,"a",@progbits
	.p2align	6, 0x0
	.amdhsa_kernel _ZL40rocblas_copy_triangular_syrk_herk_kernelILb1ELb0ELb0E19rocblas_complex_numIdEPKPS1_Li16ELi16EEviT3_ilPT2_i
		.amdhsa_group_segment_fixed_size 0
		.amdhsa_private_segment_fixed_size 0
		.amdhsa_kernarg_size 304
		.amdhsa_user_sgpr_count 2
		.amdhsa_user_sgpr_dispatch_ptr 0
		.amdhsa_user_sgpr_queue_ptr 0
		.amdhsa_user_sgpr_kernarg_segment_ptr 1
		.amdhsa_user_sgpr_dispatch_id 0
		.amdhsa_user_sgpr_kernarg_preload_length 0
		.amdhsa_user_sgpr_kernarg_preload_offset 0
		.amdhsa_user_sgpr_private_segment_size 0
		.amdhsa_wavefront_size32 1
		.amdhsa_uses_dynamic_stack 0
		.amdhsa_enable_private_segment 0
		.amdhsa_system_sgpr_workgroup_id_x 1
		.amdhsa_system_sgpr_workgroup_id_y 1
		.amdhsa_system_sgpr_workgroup_id_z 1
		.amdhsa_system_sgpr_workgroup_info 0
		.amdhsa_system_vgpr_workitem_id 1
		.amdhsa_next_free_vgpr 14
		.amdhsa_next_free_sgpr 20
		.amdhsa_named_barrier_count 0
		.amdhsa_reserve_vcc 1
		.amdhsa_float_round_mode_32 0
		.amdhsa_float_round_mode_16_64 0
		.amdhsa_float_denorm_mode_32 3
		.amdhsa_float_denorm_mode_16_64 3
		.amdhsa_fp16_overflow 0
		.amdhsa_memory_ordered 1
		.amdhsa_forward_progress 1
		.amdhsa_inst_pref_size 5
		.amdhsa_round_robin_scheduling 0
		.amdhsa_exception_fp_ieee_invalid_op 0
		.amdhsa_exception_fp_denorm_src 0
		.amdhsa_exception_fp_ieee_div_zero 0
		.amdhsa_exception_fp_ieee_overflow 0
		.amdhsa_exception_fp_ieee_underflow 0
		.amdhsa_exception_fp_ieee_inexact 0
		.amdhsa_exception_int_div_zero 0
	.end_amdhsa_kernel
	.section	.text._ZL40rocblas_copy_triangular_syrk_herk_kernelILb1ELb0ELb0E19rocblas_complex_numIdEPKPS1_Li16ELi16EEviT3_ilPT2_i,"axG",@progbits,_ZL40rocblas_copy_triangular_syrk_herk_kernelILb1ELb0ELb0E19rocblas_complex_numIdEPKPS1_Li16ELi16EEviT3_ilPT2_i,comdat
.Lfunc_end29:
	.size	_ZL40rocblas_copy_triangular_syrk_herk_kernelILb1ELb0ELb0E19rocblas_complex_numIdEPKPS1_Li16ELi16EEviT3_ilPT2_i, .Lfunc_end29-_ZL40rocblas_copy_triangular_syrk_herk_kernelILb1ELb0ELb0E19rocblas_complex_numIdEPKPS1_Li16ELi16EEviT3_ilPT2_i
                                        ; -- End function
	.set _ZL40rocblas_copy_triangular_syrk_herk_kernelILb1ELb0ELb0E19rocblas_complex_numIdEPKPS1_Li16ELi16EEviT3_ilPT2_i.num_vgpr, 14
	.set _ZL40rocblas_copy_triangular_syrk_herk_kernelILb1ELb0ELb0E19rocblas_complex_numIdEPKPS1_Li16ELi16EEviT3_ilPT2_i.num_agpr, 0
	.set _ZL40rocblas_copy_triangular_syrk_herk_kernelILb1ELb0ELb0E19rocblas_complex_numIdEPKPS1_Li16ELi16EEviT3_ilPT2_i.numbered_sgpr, 20
	.set _ZL40rocblas_copy_triangular_syrk_herk_kernelILb1ELb0ELb0E19rocblas_complex_numIdEPKPS1_Li16ELi16EEviT3_ilPT2_i.num_named_barrier, 0
	.set _ZL40rocblas_copy_triangular_syrk_herk_kernelILb1ELb0ELb0E19rocblas_complex_numIdEPKPS1_Li16ELi16EEviT3_ilPT2_i.private_seg_size, 0
	.set _ZL40rocblas_copy_triangular_syrk_herk_kernelILb1ELb0ELb0E19rocblas_complex_numIdEPKPS1_Li16ELi16EEviT3_ilPT2_i.uses_vcc, 1
	.set _ZL40rocblas_copy_triangular_syrk_herk_kernelILb1ELb0ELb0E19rocblas_complex_numIdEPKPS1_Li16ELi16EEviT3_ilPT2_i.uses_flat_scratch, 0
	.set _ZL40rocblas_copy_triangular_syrk_herk_kernelILb1ELb0ELb0E19rocblas_complex_numIdEPKPS1_Li16ELi16EEviT3_ilPT2_i.has_dyn_sized_stack, 0
	.set _ZL40rocblas_copy_triangular_syrk_herk_kernelILb1ELb0ELb0E19rocblas_complex_numIdEPKPS1_Li16ELi16EEviT3_ilPT2_i.has_recursion, 0
	.set _ZL40rocblas_copy_triangular_syrk_herk_kernelILb1ELb0ELb0E19rocblas_complex_numIdEPKPS1_Li16ELi16EEviT3_ilPT2_i.has_indirect_call, 0
	.section	.AMDGPU.csdata,"",@progbits
; Kernel info:
; codeLenInByte = 528
; TotalNumSgprs: 22
; NumVgprs: 14
; ScratchSize: 0
; MemoryBound: 0
; FloatMode: 240
; IeeeMode: 1
; LDSByteSize: 0 bytes/workgroup (compile time only)
; SGPRBlocks: 0
; VGPRBlocks: 0
; NumSGPRsForWavesPerEU: 22
; NumVGPRsForWavesPerEU: 14
; NamedBarCnt: 0
; Occupancy: 16
; WaveLimiterHint : 0
; COMPUTE_PGM_RSRC2:SCRATCH_EN: 0
; COMPUTE_PGM_RSRC2:USER_SGPR: 2
; COMPUTE_PGM_RSRC2:TRAP_HANDLER: 0
; COMPUTE_PGM_RSRC2:TGID_X_EN: 1
; COMPUTE_PGM_RSRC2:TGID_Y_EN: 1
; COMPUTE_PGM_RSRC2:TGID_Z_EN: 1
; COMPUTE_PGM_RSRC2:TIDIG_COMP_CNT: 1
	.section	.text._ZL40rocblas_copy_triangular_syrk_herk_kernelILb0ELb1ELb0E19rocblas_complex_numIdEPKPS1_Li16ELi16EEviT3_ilPT2_i,"axG",@progbits,_ZL40rocblas_copy_triangular_syrk_herk_kernelILb0ELb1ELb0E19rocblas_complex_numIdEPKPS1_Li16ELi16EEviT3_ilPT2_i,comdat
	.globl	_ZL40rocblas_copy_triangular_syrk_herk_kernelILb0ELb1ELb0E19rocblas_complex_numIdEPKPS1_Li16ELi16EEviT3_ilPT2_i ; -- Begin function _ZL40rocblas_copy_triangular_syrk_herk_kernelILb0ELb1ELb0E19rocblas_complex_numIdEPKPS1_Li16ELi16EEviT3_ilPT2_i
	.p2align	8
	.type	_ZL40rocblas_copy_triangular_syrk_herk_kernelILb0ELb1ELb0E19rocblas_complex_numIdEPKPS1_Li16ELi16EEviT3_ilPT2_i,@function
_ZL40rocblas_copy_triangular_syrk_herk_kernelILb0ELb1ELb0E19rocblas_complex_numIdEPKPS1_Li16ELi16EEviT3_ilPT2_i: ; @_ZL40rocblas_copy_triangular_syrk_herk_kernelILb0ELb1ELb0E19rocblas_complex_numIdEPKPS1_Li16ELi16EEviT3_ilPT2_i
; %bb.0:
	s_load_b32 s7, s[0:1], 0x28
	s_bfe_u32 s2, ttmp6, 0x40014
	s_lshr_b32 s3, ttmp7, 16
	s_add_co_i32 s2, s2, 1
	s_bfe_u32 s4, ttmp6, 0x40008
	s_mul_i32 s2, s3, s2
	s_getreg_b32 s12, hwreg(HW_REG_IB_STS2, 6, 4)
	s_add_co_i32 s4, s4, s2
	s_cmp_eq_u32 s12, 0
	s_cselect_b32 s2, s3, s4
	s_mov_b32 s3, 0
	s_wait_kmcnt 0x0
	s_cmp_ge_u32 s2, s7
	s_cbranch_scc1 .LBB30_5
; %bb.1:
	s_clause 0x3
	s_load_b32 s14, s[0:1], 0x0
	s_load_b96 s[4:6], s[0:1], 0x8
	s_load_b64 s[8:9], s[0:1], 0x20
	s_load_b32 s16, s[0:1], 0x3c
	s_wait_xcnt 0x0
	s_bfe_u32 s0, ttmp6, 0x40010
	s_and_b32 s17, ttmp7, 0xffff
	s_add_co_i32 s0, s0, 1
	s_bfe_u32 s10, ttmp6, 0x40004
	s_bfe_u32 s11, ttmp6, 0x4000c
	s_mul_i32 s0, s17, s0
	s_add_co_i32 s11, s11, 1
	s_add_co_i32 s19, s10, s0
	s_mul_i32 s18, ttmp9, s11
	s_mov_b32 s1, s3
	s_and_b32 s13, ttmp6, 15
	v_bfe_u32 v1, v0, 10, 10
	s_add_co_i32 s18, s13, s18
	v_and_b32_e32 v2, 0x3ff, v0
	s_wait_kmcnt 0x0
	s_add_co_i32 s10, s14, -1
	s_ashr_i32 s15, s14, 31
	s_ashr_i32 s11, s10, 31
	;; [unrolled: 1-line block ×3, first 2 shown]
	s_mul_u64 s[10:11], s[10:11], s[14:15]
	s_lshr_b32 s15, s16, 16
	s_lshr_b32 s0, s11, 31
	s_and_b32 s16, s16, 0xffff
	s_add_nc_u64 s[0:1], s[10:11], s[0:1]
	s_delay_alu instid0(SALU_CYCLE_1) | instskip(SKIP_3) | instid1(SALU_CYCLE_1)
	s_ashr_i64 s[10:11], s[0:1], 1
	s_cmp_eq_u32 s12, 0
	s_mov_b32 s12, s6
	s_cselect_b32 s0, s17, s19
	v_mad_u32 v0, s0, s15, v1
	s_cselect_b32 s0, ttmp9, s18
	s_delay_alu instid0(SALU_CYCLE_1) | instskip(NEXT) | instid1(VALU_DEP_1)
	v_mad_u32 v6, s0, s16, v2
	v_dual_add_nc_u32 v1, -1, v0 :: v_dual_ashrrev_i32 v7, 31, v6
	v_cmp_gt_i32_e32 vcc_lo, v0, v6
	s_delay_alu instid0(VALU_DEP_2) | instskip(SKIP_1) | instid1(VALU_DEP_4)
	v_mul_lo_u32 v1, v1, v0
	v_max_i32_e32 v5, v0, v6
	v_mul_u64_e32 v[2:3], s[12:13], v[6:7]
	s_delay_alu instid0(VALU_DEP_2) | instskip(NEXT) | instid1(VALU_DEP_4)
	v_cmp_gt_i32_e64 s0, s14, v5
	v_lshrrev_b32_e32 v4, 31, v1
	s_and_b32 s0, vcc_lo, s0
	s_delay_alu instid0(VALU_DEP_1) | instskip(NEXT) | instid1(VALU_DEP_1)
	v_add_nc_u32_e32 v1, v1, v4
	v_ashrrev_i32_e32 v1, 1, v1
	s_delay_alu instid0(VALU_DEP_1) | instskip(NEXT) | instid1(VALU_DEP_1)
	v_dual_add_nc_u32 v4, v1, v6 :: v_dual_ashrrev_i32 v1, 31, v0
	v_dual_mov_b32 v6, 0 :: v_dual_ashrrev_i32 v5, 31, v4
	s_branch .LBB30_3
.LBB30_2:                               ;   in Loop: Header=BB30_3 Depth=1
	s_wait_xcnt 0x0
	s_or_b32 exec_lo, exec_lo, s1
	s_add_co_i32 s2, s2, 0x10000
	s_delay_alu instid0(SALU_CYCLE_1)
	s_cmp_lt_u32 s2, s7
	s_cbranch_scc0 .LBB30_5
.LBB30_3:                               ; =>This Inner Loop Header: Depth=1
	s_mul_u64 s[12:13], s[10:11], s[2:3]
	s_delay_alu instid0(SALU_CYCLE_1) | instskip(NEXT) | instid1(SALU_CYCLE_1)
	s_lshl_b64 s[12:13], s[12:13], 4
	s_add_nc_u64 s[8:9], s[8:9], s[12:13]
	s_and_saveexec_b32 s1, s0
	s_cbranch_execz .LBB30_2
; %bb.4:                                ;   in Loop: Header=BB30_3 Depth=1
	s_lshl_b64 s[12:13], s[2:3], 3
	v_lshl_add_u64 v[8:9], v[4:5], 4, s[8:9]
	s_add_nc_u64 s[12:13], s[4:5], s[12:13]
	global_load_b64 v[12:13], v6, s[12:13]
	global_load_b128 v[8:11], v[8:9], off
	s_wait_loadcnt 0x1
	v_lshl_add_u64 v[12:13], v[2:3], 4, v[12:13]
	s_delay_alu instid0(VALU_DEP_1)
	v_lshl_add_u64 v[12:13], v[0:1], 4, v[12:13]
	s_wait_loadcnt 0x0
	flat_store_b128 v[12:13], v[8:11]
	s_branch .LBB30_2
.LBB30_5:
	s_endpgm
	.section	.rodata,"a",@progbits
	.p2align	6, 0x0
	.amdhsa_kernel _ZL40rocblas_copy_triangular_syrk_herk_kernelILb0ELb1ELb0E19rocblas_complex_numIdEPKPS1_Li16ELi16EEviT3_ilPT2_i
		.amdhsa_group_segment_fixed_size 0
		.amdhsa_private_segment_fixed_size 0
		.amdhsa_kernarg_size 304
		.amdhsa_user_sgpr_count 2
		.amdhsa_user_sgpr_dispatch_ptr 0
		.amdhsa_user_sgpr_queue_ptr 0
		.amdhsa_user_sgpr_kernarg_segment_ptr 1
		.amdhsa_user_sgpr_dispatch_id 0
		.amdhsa_user_sgpr_kernarg_preload_length 0
		.amdhsa_user_sgpr_kernarg_preload_offset 0
		.amdhsa_user_sgpr_private_segment_size 0
		.amdhsa_wavefront_size32 1
		.amdhsa_uses_dynamic_stack 0
		.amdhsa_enable_private_segment 0
		.amdhsa_system_sgpr_workgroup_id_x 1
		.amdhsa_system_sgpr_workgroup_id_y 1
		.amdhsa_system_sgpr_workgroup_id_z 1
		.amdhsa_system_sgpr_workgroup_info 0
		.amdhsa_system_vgpr_workitem_id 1
		.amdhsa_next_free_vgpr 14
		.amdhsa_next_free_sgpr 20
		.amdhsa_named_barrier_count 0
		.amdhsa_reserve_vcc 1
		.amdhsa_float_round_mode_32 0
		.amdhsa_float_round_mode_16_64 0
		.amdhsa_float_denorm_mode_32 3
		.amdhsa_float_denorm_mode_16_64 3
		.amdhsa_fp16_overflow 0
		.amdhsa_memory_ordered 1
		.amdhsa_forward_progress 1
		.amdhsa_inst_pref_size 4
		.amdhsa_round_robin_scheduling 0
		.amdhsa_exception_fp_ieee_invalid_op 0
		.amdhsa_exception_fp_denorm_src 0
		.amdhsa_exception_fp_ieee_div_zero 0
		.amdhsa_exception_fp_ieee_overflow 0
		.amdhsa_exception_fp_ieee_underflow 0
		.amdhsa_exception_fp_ieee_inexact 0
		.amdhsa_exception_int_div_zero 0
	.end_amdhsa_kernel
	.section	.text._ZL40rocblas_copy_triangular_syrk_herk_kernelILb0ELb1ELb0E19rocblas_complex_numIdEPKPS1_Li16ELi16EEviT3_ilPT2_i,"axG",@progbits,_ZL40rocblas_copy_triangular_syrk_herk_kernelILb0ELb1ELb0E19rocblas_complex_numIdEPKPS1_Li16ELi16EEviT3_ilPT2_i,comdat
.Lfunc_end30:
	.size	_ZL40rocblas_copy_triangular_syrk_herk_kernelILb0ELb1ELb0E19rocblas_complex_numIdEPKPS1_Li16ELi16EEviT3_ilPT2_i, .Lfunc_end30-_ZL40rocblas_copy_triangular_syrk_herk_kernelILb0ELb1ELb0E19rocblas_complex_numIdEPKPS1_Li16ELi16EEviT3_ilPT2_i
                                        ; -- End function
	.set _ZL40rocblas_copy_triangular_syrk_herk_kernelILb0ELb1ELb0E19rocblas_complex_numIdEPKPS1_Li16ELi16EEviT3_ilPT2_i.num_vgpr, 14
	.set _ZL40rocblas_copy_triangular_syrk_herk_kernelILb0ELb1ELb0E19rocblas_complex_numIdEPKPS1_Li16ELi16EEviT3_ilPT2_i.num_agpr, 0
	.set _ZL40rocblas_copy_triangular_syrk_herk_kernelILb0ELb1ELb0E19rocblas_complex_numIdEPKPS1_Li16ELi16EEviT3_ilPT2_i.numbered_sgpr, 20
	.set _ZL40rocblas_copy_triangular_syrk_herk_kernelILb0ELb1ELb0E19rocblas_complex_numIdEPKPS1_Li16ELi16EEviT3_ilPT2_i.num_named_barrier, 0
	.set _ZL40rocblas_copy_triangular_syrk_herk_kernelILb0ELb1ELb0E19rocblas_complex_numIdEPKPS1_Li16ELi16EEviT3_ilPT2_i.private_seg_size, 0
	.set _ZL40rocblas_copy_triangular_syrk_herk_kernelILb0ELb1ELb0E19rocblas_complex_numIdEPKPS1_Li16ELi16EEviT3_ilPT2_i.uses_vcc, 1
	.set _ZL40rocblas_copy_triangular_syrk_herk_kernelILb0ELb1ELb0E19rocblas_complex_numIdEPKPS1_Li16ELi16EEviT3_ilPT2_i.uses_flat_scratch, 0
	.set _ZL40rocblas_copy_triangular_syrk_herk_kernelILb0ELb1ELb0E19rocblas_complex_numIdEPKPS1_Li16ELi16EEviT3_ilPT2_i.has_dyn_sized_stack, 0
	.set _ZL40rocblas_copy_triangular_syrk_herk_kernelILb0ELb1ELb0E19rocblas_complex_numIdEPKPS1_Li16ELi16EEviT3_ilPT2_i.has_recursion, 0
	.set _ZL40rocblas_copy_triangular_syrk_herk_kernelILb0ELb1ELb0E19rocblas_complex_numIdEPKPS1_Li16ELi16EEviT3_ilPT2_i.has_indirect_call, 0
	.section	.AMDGPU.csdata,"",@progbits
; Kernel info:
; codeLenInByte = 512
; TotalNumSgprs: 22
; NumVgprs: 14
; ScratchSize: 0
; MemoryBound: 0
; FloatMode: 240
; IeeeMode: 1
; LDSByteSize: 0 bytes/workgroup (compile time only)
; SGPRBlocks: 0
; VGPRBlocks: 0
; NumSGPRsForWavesPerEU: 22
; NumVGPRsForWavesPerEU: 14
; NamedBarCnt: 0
; Occupancy: 16
; WaveLimiterHint : 1
; COMPUTE_PGM_RSRC2:SCRATCH_EN: 0
; COMPUTE_PGM_RSRC2:USER_SGPR: 2
; COMPUTE_PGM_RSRC2:TRAP_HANDLER: 0
; COMPUTE_PGM_RSRC2:TGID_X_EN: 1
; COMPUTE_PGM_RSRC2:TGID_Y_EN: 1
; COMPUTE_PGM_RSRC2:TGID_Z_EN: 1
; COMPUTE_PGM_RSRC2:TIDIG_COMP_CNT: 1
	.section	.text._ZL40rocblas_copy_triangular_syrk_herk_kernelILb0ELb0ELb0E19rocblas_complex_numIdEPKPS1_Li16ELi16EEviT3_ilPT2_i,"axG",@progbits,_ZL40rocblas_copy_triangular_syrk_herk_kernelILb0ELb0ELb0E19rocblas_complex_numIdEPKPS1_Li16ELi16EEviT3_ilPT2_i,comdat
	.globl	_ZL40rocblas_copy_triangular_syrk_herk_kernelILb0ELb0ELb0E19rocblas_complex_numIdEPKPS1_Li16ELi16EEviT3_ilPT2_i ; -- Begin function _ZL40rocblas_copy_triangular_syrk_herk_kernelILb0ELb0ELb0E19rocblas_complex_numIdEPKPS1_Li16ELi16EEviT3_ilPT2_i
	.p2align	8
	.type	_ZL40rocblas_copy_triangular_syrk_herk_kernelILb0ELb0ELb0E19rocblas_complex_numIdEPKPS1_Li16ELi16EEviT3_ilPT2_i,@function
_ZL40rocblas_copy_triangular_syrk_herk_kernelILb0ELb0ELb0E19rocblas_complex_numIdEPKPS1_Li16ELi16EEviT3_ilPT2_i: ; @_ZL40rocblas_copy_triangular_syrk_herk_kernelILb0ELb0ELb0E19rocblas_complex_numIdEPKPS1_Li16ELi16EEviT3_ilPT2_i
; %bb.0:
	s_load_b32 s7, s[0:1], 0x28
	s_bfe_u32 s2, ttmp6, 0x40014
	s_lshr_b32 s3, ttmp7, 16
	s_add_co_i32 s2, s2, 1
	s_bfe_u32 s4, ttmp6, 0x40008
	s_mul_i32 s2, s3, s2
	s_getreg_b32 s12, hwreg(HW_REG_IB_STS2, 6, 4)
	s_add_co_i32 s4, s4, s2
	s_cmp_eq_u32 s12, 0
	s_cselect_b32 s2, s3, s4
	s_mov_b32 s3, 0
	s_wait_kmcnt 0x0
	s_cmp_ge_u32 s2, s7
	s_cbranch_scc1 .LBB31_5
; %bb.1:
	s_clause 0x3
	s_load_b32 s14, s[0:1], 0x0
	s_load_b96 s[4:6], s[0:1], 0x8
	s_load_b64 s[8:9], s[0:1], 0x20
	s_load_b32 s16, s[0:1], 0x3c
	s_wait_xcnt 0x0
	s_bfe_u32 s0, ttmp6, 0x40010
	s_and_b32 s17, ttmp7, 0xffff
	s_add_co_i32 s0, s0, 1
	s_bfe_u32 s10, ttmp6, 0x40004
	s_bfe_u32 s11, ttmp6, 0x4000c
	s_mul_i32 s0, s17, s0
	s_add_co_i32 s11, s11, 1
	s_add_co_i32 s19, s10, s0
	s_mul_i32 s18, ttmp9, s11
	s_mov_b32 s1, s3
	s_and_b32 s13, ttmp6, 15
	v_bfe_u32 v1, v0, 10, 10
	s_add_co_i32 s18, s13, s18
	v_and_b32_e32 v0, 0x3ff, v0
	s_wait_kmcnt 0x0
	s_add_co_i32 s10, s14, -1
	s_ashr_i32 s15, s14, 31
	s_ashr_i32 s11, s10, 31
	;; [unrolled: 1-line block ×3, first 2 shown]
	s_mul_u64 s[10:11], s[10:11], s[14:15]
	s_lshr_b32 s15, s16, 16
	s_lshr_b32 s0, s11, 31
	s_and_b32 s16, s16, 0xffff
	s_add_nc_u64 s[0:1], s[10:11], s[0:1]
	s_delay_alu instid0(SALU_CYCLE_1) | instskip(SKIP_3) | instid1(SALU_CYCLE_1)
	s_ashr_i64 s[10:11], s[0:1], 1
	s_cmp_eq_u32 s12, 0
	s_mov_b32 s12, s6
	s_cselect_b32 s0, s17, s19
	v_mad_u32 v2, s0, s15, v1
	s_cselect_b32 s0, ttmp9, s18
	s_delay_alu instid0(SALU_CYCLE_1) | instskip(NEXT) | instid1(VALU_DEP_2)
	v_mad_u32 v6, s0, s16, v0
	v_not_b32_e32 v3, v2
	s_delay_alu instid0(VALU_DEP_2) | instskip(NEXT) | instid1(VALU_DEP_2)
	v_cmp_lt_i32_e32 vcc_lo, v2, v6
	v_lshl_add_u32 v0, s14, 1, v3
	s_delay_alu instid0(VALU_DEP_1) | instskip(NEXT) | instid1(VALU_DEP_1)
	v_mul_lo_u32 v4, v0, v2
	v_dual_ashrrev_i32 v7, 31, v6 :: v_dual_lshrrev_b32 v5, 31, v4
	s_delay_alu instid0(VALU_DEP_1) | instskip(NEXT) | instid1(VALU_DEP_2)
	v_mul_u64_e32 v[0:1], s[12:13], v[6:7]
	v_dual_add_nc_u32 v4, v4, v5 :: v_dual_max_i32 v5, v2, v6
	s_delay_alu instid0(VALU_DEP_1) | instskip(NEXT) | instid1(VALU_DEP_2)
	v_ashrrev_i32_e32 v4, 1, v4
	v_cmp_gt_i32_e64 s0, s14, v5
	s_delay_alu instid0(VALU_DEP_2) | instskip(SKIP_2) | instid1(VALU_DEP_2)
	v_add3_u32 v4, v6, v3, v4
	v_ashrrev_i32_e32 v3, 31, v2
	s_and_b32 s0, vcc_lo, s0
	v_dual_mov_b32 v6, 0 :: v_dual_ashrrev_i32 v5, 31, v4
	s_branch .LBB31_3
.LBB31_2:                               ;   in Loop: Header=BB31_3 Depth=1
	s_wait_xcnt 0x0
	s_or_b32 exec_lo, exec_lo, s1
	s_add_co_i32 s2, s2, 0x10000
	s_delay_alu instid0(SALU_CYCLE_1)
	s_cmp_lt_u32 s2, s7
	s_cbranch_scc0 .LBB31_5
.LBB31_3:                               ; =>This Inner Loop Header: Depth=1
	s_mul_u64 s[12:13], s[10:11], s[2:3]
	s_delay_alu instid0(SALU_CYCLE_1) | instskip(NEXT) | instid1(SALU_CYCLE_1)
	s_lshl_b64 s[12:13], s[12:13], 4
	s_add_nc_u64 s[8:9], s[8:9], s[12:13]
	s_and_saveexec_b32 s1, s0
	s_cbranch_execz .LBB31_2
; %bb.4:                                ;   in Loop: Header=BB31_3 Depth=1
	s_lshl_b64 s[12:13], s[2:3], 3
	v_lshl_add_u64 v[8:9], v[4:5], 4, s[8:9]
	s_add_nc_u64 s[12:13], s[4:5], s[12:13]
	global_load_b64 v[12:13], v6, s[12:13]
	global_load_b128 v[8:11], v[8:9], off
	s_wait_loadcnt 0x1
	v_lshl_add_u64 v[12:13], v[0:1], 4, v[12:13]
	s_delay_alu instid0(VALU_DEP_1)
	v_lshl_add_u64 v[12:13], v[2:3], 4, v[12:13]
	s_wait_loadcnt 0x0
	flat_store_b128 v[12:13], v[8:11]
	s_branch .LBB31_2
.LBB31_5:
	s_endpgm
	.section	.rodata,"a",@progbits
	.p2align	6, 0x0
	.amdhsa_kernel _ZL40rocblas_copy_triangular_syrk_herk_kernelILb0ELb0ELb0E19rocblas_complex_numIdEPKPS1_Li16ELi16EEviT3_ilPT2_i
		.amdhsa_group_segment_fixed_size 0
		.amdhsa_private_segment_fixed_size 0
		.amdhsa_kernarg_size 304
		.amdhsa_user_sgpr_count 2
		.amdhsa_user_sgpr_dispatch_ptr 0
		.amdhsa_user_sgpr_queue_ptr 0
		.amdhsa_user_sgpr_kernarg_segment_ptr 1
		.amdhsa_user_sgpr_dispatch_id 0
		.amdhsa_user_sgpr_kernarg_preload_length 0
		.amdhsa_user_sgpr_kernarg_preload_offset 0
		.amdhsa_user_sgpr_private_segment_size 0
		.amdhsa_wavefront_size32 1
		.amdhsa_uses_dynamic_stack 0
		.amdhsa_enable_private_segment 0
		.amdhsa_system_sgpr_workgroup_id_x 1
		.amdhsa_system_sgpr_workgroup_id_y 1
		.amdhsa_system_sgpr_workgroup_id_z 1
		.amdhsa_system_sgpr_workgroup_info 0
		.amdhsa_system_vgpr_workitem_id 1
		.amdhsa_next_free_vgpr 14
		.amdhsa_next_free_sgpr 20
		.amdhsa_named_barrier_count 0
		.amdhsa_reserve_vcc 1
		.amdhsa_float_round_mode_32 0
		.amdhsa_float_round_mode_16_64 0
		.amdhsa_float_denorm_mode_32 3
		.amdhsa_float_denorm_mode_16_64 3
		.amdhsa_fp16_overflow 0
		.amdhsa_memory_ordered 1
		.amdhsa_forward_progress 1
		.amdhsa_inst_pref_size 5
		.amdhsa_round_robin_scheduling 0
		.amdhsa_exception_fp_ieee_invalid_op 0
		.amdhsa_exception_fp_denorm_src 0
		.amdhsa_exception_fp_ieee_div_zero 0
		.amdhsa_exception_fp_ieee_overflow 0
		.amdhsa_exception_fp_ieee_underflow 0
		.amdhsa_exception_fp_ieee_inexact 0
		.amdhsa_exception_int_div_zero 0
	.end_amdhsa_kernel
	.section	.text._ZL40rocblas_copy_triangular_syrk_herk_kernelILb0ELb0ELb0E19rocblas_complex_numIdEPKPS1_Li16ELi16EEviT3_ilPT2_i,"axG",@progbits,_ZL40rocblas_copy_triangular_syrk_herk_kernelILb0ELb0ELb0E19rocblas_complex_numIdEPKPS1_Li16ELi16EEviT3_ilPT2_i,comdat
.Lfunc_end31:
	.size	_ZL40rocblas_copy_triangular_syrk_herk_kernelILb0ELb0ELb0E19rocblas_complex_numIdEPKPS1_Li16ELi16EEviT3_ilPT2_i, .Lfunc_end31-_ZL40rocblas_copy_triangular_syrk_herk_kernelILb0ELb0ELb0E19rocblas_complex_numIdEPKPS1_Li16ELi16EEviT3_ilPT2_i
                                        ; -- End function
	.set _ZL40rocblas_copy_triangular_syrk_herk_kernelILb0ELb0ELb0E19rocblas_complex_numIdEPKPS1_Li16ELi16EEviT3_ilPT2_i.num_vgpr, 14
	.set _ZL40rocblas_copy_triangular_syrk_herk_kernelILb0ELb0ELb0E19rocblas_complex_numIdEPKPS1_Li16ELi16EEviT3_ilPT2_i.num_agpr, 0
	.set _ZL40rocblas_copy_triangular_syrk_herk_kernelILb0ELb0ELb0E19rocblas_complex_numIdEPKPS1_Li16ELi16EEviT3_ilPT2_i.numbered_sgpr, 20
	.set _ZL40rocblas_copy_triangular_syrk_herk_kernelILb0ELb0ELb0E19rocblas_complex_numIdEPKPS1_Li16ELi16EEviT3_ilPT2_i.num_named_barrier, 0
	.set _ZL40rocblas_copy_triangular_syrk_herk_kernelILb0ELb0ELb0E19rocblas_complex_numIdEPKPS1_Li16ELi16EEviT3_ilPT2_i.private_seg_size, 0
	.set _ZL40rocblas_copy_triangular_syrk_herk_kernelILb0ELb0ELb0E19rocblas_complex_numIdEPKPS1_Li16ELi16EEviT3_ilPT2_i.uses_vcc, 1
	.set _ZL40rocblas_copy_triangular_syrk_herk_kernelILb0ELb0ELb0E19rocblas_complex_numIdEPKPS1_Li16ELi16EEviT3_ilPT2_i.uses_flat_scratch, 0
	.set _ZL40rocblas_copy_triangular_syrk_herk_kernelILb0ELb0ELb0E19rocblas_complex_numIdEPKPS1_Li16ELi16EEviT3_ilPT2_i.has_dyn_sized_stack, 0
	.set _ZL40rocblas_copy_triangular_syrk_herk_kernelILb0ELb0ELb0E19rocblas_complex_numIdEPKPS1_Li16ELi16EEviT3_ilPT2_i.has_recursion, 0
	.set _ZL40rocblas_copy_triangular_syrk_herk_kernelILb0ELb0ELb0E19rocblas_complex_numIdEPKPS1_Li16ELi16EEviT3_ilPT2_i.has_indirect_call, 0
	.section	.AMDGPU.csdata,"",@progbits
; Kernel info:
; codeLenInByte = 528
; TotalNumSgprs: 22
; NumVgprs: 14
; ScratchSize: 0
; MemoryBound: 0
; FloatMode: 240
; IeeeMode: 1
; LDSByteSize: 0 bytes/workgroup (compile time only)
; SGPRBlocks: 0
; VGPRBlocks: 0
; NumSGPRsForWavesPerEU: 22
; NumVGPRsForWavesPerEU: 14
; NamedBarCnt: 0
; Occupancy: 16
; WaveLimiterHint : 1
; COMPUTE_PGM_RSRC2:SCRATCH_EN: 0
; COMPUTE_PGM_RSRC2:USER_SGPR: 2
; COMPUTE_PGM_RSRC2:TRAP_HANDLER: 0
; COMPUTE_PGM_RSRC2:TGID_X_EN: 1
; COMPUTE_PGM_RSRC2:TGID_Y_EN: 1
; COMPUTE_PGM_RSRC2:TGID_Z_EN: 1
; COMPUTE_PGM_RSRC2:TIDIG_COMP_CNT: 1
	.section	.text._ZL40rocblas_copy_triangular_syrk_herk_kernelILb1ELb1ELb1E19rocblas_complex_numIfEPS1_Li16ELi16EEviT3_ilPT2_i,"axG",@progbits,_ZL40rocblas_copy_triangular_syrk_herk_kernelILb1ELb1ELb1E19rocblas_complex_numIfEPS1_Li16ELi16EEviT3_ilPT2_i,comdat
	.globl	_ZL40rocblas_copy_triangular_syrk_herk_kernelILb1ELb1ELb1E19rocblas_complex_numIfEPS1_Li16ELi16EEviT3_ilPT2_i ; -- Begin function _ZL40rocblas_copy_triangular_syrk_herk_kernelILb1ELb1ELb1E19rocblas_complex_numIfEPS1_Li16ELi16EEviT3_ilPT2_i
	.p2align	8
	.type	_ZL40rocblas_copy_triangular_syrk_herk_kernelILb1ELb1ELb1E19rocblas_complex_numIfEPS1_Li16ELi16EEviT3_ilPT2_i,@function
_ZL40rocblas_copy_triangular_syrk_herk_kernelILb1ELb1ELb1E19rocblas_complex_numIfEPS1_Li16ELi16EEviT3_ilPT2_i: ; @_ZL40rocblas_copy_triangular_syrk_herk_kernelILb1ELb1ELb1E19rocblas_complex_numIfEPS1_Li16ELi16EEviT3_ilPT2_i
; %bb.0:
	s_load_b32 s11, s[0:1], 0x28
	s_bfe_u32 s2, ttmp6, 0x40014
	s_lshr_b32 s3, ttmp7, 16
	s_add_co_i32 s2, s2, 1
	s_bfe_u32 s5, ttmp6, 0x40008
	s_mul_i32 s2, s3, s2
	s_getreg_b32 s4, hwreg(HW_REG_IB_STS2, 6, 4)
	s_add_co_i32 s5, s5, s2
	s_cmp_eq_u32 s4, 0
	s_cselect_b32 s2, s3, s5
	s_mov_b32 s3, 0
	s_wait_kmcnt 0x0
	s_cmp_ge_u32 s2, s11
	s_cbranch_scc1 .LBB32_5
; %bb.1:
	s_clause 0x2
	s_load_b32 s14, s[0:1], 0x0
	s_load_b96 s[8:10], s[0:1], 0x8
	s_load_b32 s16, s[0:1], 0x3c
	s_bfe_u32 s12, ttmp6, 0x4000c
	s_bfe_u32 s5, ttmp6, 0x40010
	s_add_co_i32 s12, s12, 1
	s_and_b32 s17, ttmp7, 0xffff
	s_mul_i32 s19, ttmp9, s12
	s_add_co_i32 s5, s5, 1
	s_bfe_u32 s6, ttmp6, 0x40004
	s_mul_i32 s5, s17, s5
	s_mov_b32 s7, s3
	s_add_co_i32 s20, s6, s5
	s_and_b32 s18, ttmp6, 15
	v_and_b32_e32 v1, 0x3ff, v0
	s_add_co_i32 s18, s18, s19
	v_bfe_u32 v0, v0, 10, 10
	s_wait_kmcnt 0x0
	s_add_co_i32 s12, s14, -1
	s_ashr_i32 s15, s14, 31
	s_ashr_i32 s13, s12, 31
	;; [unrolled: 1-line block ×3, first 2 shown]
	s_mul_u64 s[12:13], s[12:13], s[14:15]
	s_lshr_b32 s15, s16, 16
	s_lshr_b32 s6, s13, 31
	s_and_b32 s16, s16, 0xffff
	s_add_nc_u64 s[6:7], s[12:13], s[6:7]
	s_delay_alu instid0(SALU_CYCLE_1) | instskip(SKIP_2) | instid1(SALU_CYCLE_1)
	s_ashr_i64 s[12:13], s[6:7], 1
	s_cmp_eq_u32 s4, 0
	s_cselect_b32 s4, ttmp9, s18
	v_mad_u32 v2, s4, s16, v1
	s_cselect_b32 s4, s17, s20
	s_delay_alu instid0(SALU_CYCLE_1) | instskip(SKIP_1) | instid1(VALU_DEP_1)
	v_mad_u32 v4, s4, s15, v0
	s_mov_b32 s4, s10
	v_dual_ashrrev_i32 v3, 31, v2 :: v_dual_max_i32 v8, v4, v2
	v_cmp_gt_i32_e32 vcc_lo, v4, v2
	s_delay_alu instid0(VALU_DEP_2) | instskip(SKIP_4) | instid1(VALU_DEP_2)
	v_mul_u64_e32 v[0:1], s[4:5], v[2:3]
	v_add_nc_u32_e32 v3, -1, v4
	s_load_b128 s[4:7], s[0:1], 0x18
	s_wait_xcnt 0x0
	v_cmp_gt_i32_e64 s0, s14, v8
	v_mul_lo_u32 v3, v3, v4
	s_and_b32 s0, vcc_lo, s0
	s_delay_alu instid0(VALU_DEP_1) | instskip(NEXT) | instid1(VALU_DEP_1)
	v_lshrrev_b32_e32 v5, 31, v3
	v_dual_add_nc_u32 v3, v3, v5 :: v_dual_ashrrev_i32 v5, 31, v4
	s_delay_alu instid0(VALU_DEP_1) | instskip(SKIP_1) | instid1(VALU_DEP_2)
	v_ashrrev_i32_e32 v3, 1, v3
	v_lshl_add_u64 v[6:7], v[0:1], 3, s[8:9]
	v_add_nc_u32_e32 v0, v3, v2
	s_delay_alu instid0(VALU_DEP_2) | instskip(NEXT) | instid1(VALU_DEP_2)
	v_lshl_add_u64 v[2:3], v[4:5], 3, v[6:7]
	v_ashrrev_i32_e32 v1, 31, v0
	s_branch .LBB32_3
.LBB32_2:                               ;   in Loop: Header=BB32_3 Depth=1
	s_wait_xcnt 0x0
	s_or_b32 exec_lo, exec_lo, s1
	s_add_co_i32 s2, s2, 0x10000
	s_delay_alu instid0(SALU_CYCLE_1)
	s_cmp_lt_u32 s2, s11
	s_cbranch_scc0 .LBB32_5
.LBB32_3:                               ; =>This Inner Loop Header: Depth=1
	s_mul_u64 s[8:9], s[12:13], s[2:3]
	s_delay_alu instid0(SALU_CYCLE_1)
	s_lshl_b64 s[8:9], s[8:9], 3
	s_wait_kmcnt 0x0
	s_add_nc_u64 s[6:7], s[6:7], s[8:9]
	s_and_saveexec_b32 s1, s0
	s_cbranch_execz .LBB32_2
; %bb.4:                                ;   in Loop: Header=BB32_3 Depth=1
	s_mul_u64 s[8:9], s[4:5], s[2:3]
	v_lshl_add_u64 v[6:7], v[0:1], 3, s[6:7]
	v_lshl_add_u64 v[4:5], s[8:9], 3, v[2:3]
	global_load_b64 v[4:5], v[4:5], off
	s_wait_loadcnt 0x0
	global_store_b64 v[6:7], v[4:5], off
	s_branch .LBB32_2
.LBB32_5:
	s_endpgm
	.section	.rodata,"a",@progbits
	.p2align	6, 0x0
	.amdhsa_kernel _ZL40rocblas_copy_triangular_syrk_herk_kernelILb1ELb1ELb1E19rocblas_complex_numIfEPS1_Li16ELi16EEviT3_ilPT2_i
		.amdhsa_group_segment_fixed_size 0
		.amdhsa_private_segment_fixed_size 0
		.amdhsa_kernarg_size 304
		.amdhsa_user_sgpr_count 2
		.amdhsa_user_sgpr_dispatch_ptr 0
		.amdhsa_user_sgpr_queue_ptr 0
		.amdhsa_user_sgpr_kernarg_segment_ptr 1
		.amdhsa_user_sgpr_dispatch_id 0
		.amdhsa_user_sgpr_kernarg_preload_length 0
		.amdhsa_user_sgpr_kernarg_preload_offset 0
		.amdhsa_user_sgpr_private_segment_size 0
		.amdhsa_wavefront_size32 1
		.amdhsa_uses_dynamic_stack 0
		.amdhsa_enable_private_segment 0
		.amdhsa_system_sgpr_workgroup_id_x 1
		.amdhsa_system_sgpr_workgroup_id_y 1
		.amdhsa_system_sgpr_workgroup_id_z 1
		.amdhsa_system_sgpr_workgroup_info 0
		.amdhsa_system_vgpr_workitem_id 1
		.amdhsa_next_free_vgpr 9
		.amdhsa_next_free_sgpr 21
		.amdhsa_named_barrier_count 0
		.amdhsa_reserve_vcc 1
		.amdhsa_float_round_mode_32 0
		.amdhsa_float_round_mode_16_64 0
		.amdhsa_float_denorm_mode_32 3
		.amdhsa_float_denorm_mode_16_64 3
		.amdhsa_fp16_overflow 0
		.amdhsa_memory_ordered 1
		.amdhsa_forward_progress 1
		.amdhsa_inst_pref_size 4
		.amdhsa_round_robin_scheduling 0
		.amdhsa_exception_fp_ieee_invalid_op 0
		.amdhsa_exception_fp_denorm_src 0
		.amdhsa_exception_fp_ieee_div_zero 0
		.amdhsa_exception_fp_ieee_overflow 0
		.amdhsa_exception_fp_ieee_underflow 0
		.amdhsa_exception_fp_ieee_inexact 0
		.amdhsa_exception_int_div_zero 0
	.end_amdhsa_kernel
	.section	.text._ZL40rocblas_copy_triangular_syrk_herk_kernelILb1ELb1ELb1E19rocblas_complex_numIfEPS1_Li16ELi16EEviT3_ilPT2_i,"axG",@progbits,_ZL40rocblas_copy_triangular_syrk_herk_kernelILb1ELb1ELb1E19rocblas_complex_numIfEPS1_Li16ELi16EEviT3_ilPT2_i,comdat
.Lfunc_end32:
	.size	_ZL40rocblas_copy_triangular_syrk_herk_kernelILb1ELb1ELb1E19rocblas_complex_numIfEPS1_Li16ELi16EEviT3_ilPT2_i, .Lfunc_end32-_ZL40rocblas_copy_triangular_syrk_herk_kernelILb1ELb1ELb1E19rocblas_complex_numIfEPS1_Li16ELi16EEviT3_ilPT2_i
                                        ; -- End function
	.set _ZL40rocblas_copy_triangular_syrk_herk_kernelILb1ELb1ELb1E19rocblas_complex_numIfEPS1_Li16ELi16EEviT3_ilPT2_i.num_vgpr, 9
	.set _ZL40rocblas_copy_triangular_syrk_herk_kernelILb1ELb1ELb1E19rocblas_complex_numIfEPS1_Li16ELi16EEviT3_ilPT2_i.num_agpr, 0
	.set _ZL40rocblas_copy_triangular_syrk_herk_kernelILb1ELb1ELb1E19rocblas_complex_numIfEPS1_Li16ELi16EEviT3_ilPT2_i.numbered_sgpr, 21
	.set _ZL40rocblas_copy_triangular_syrk_herk_kernelILb1ELb1ELb1E19rocblas_complex_numIfEPS1_Li16ELi16EEviT3_ilPT2_i.num_named_barrier, 0
	.set _ZL40rocblas_copy_triangular_syrk_herk_kernelILb1ELb1ELb1E19rocblas_complex_numIfEPS1_Li16ELi16EEviT3_ilPT2_i.private_seg_size, 0
	.set _ZL40rocblas_copy_triangular_syrk_herk_kernelILb1ELb1ELb1E19rocblas_complex_numIfEPS1_Li16ELi16EEviT3_ilPT2_i.uses_vcc, 1
	.set _ZL40rocblas_copy_triangular_syrk_herk_kernelILb1ELb1ELb1E19rocblas_complex_numIfEPS1_Li16ELi16EEviT3_ilPT2_i.uses_flat_scratch, 0
	.set _ZL40rocblas_copy_triangular_syrk_herk_kernelILb1ELb1ELb1E19rocblas_complex_numIfEPS1_Li16ELi16EEviT3_ilPT2_i.has_dyn_sized_stack, 0
	.set _ZL40rocblas_copy_triangular_syrk_herk_kernelILb1ELb1ELb1E19rocblas_complex_numIfEPS1_Li16ELi16EEviT3_ilPT2_i.has_recursion, 0
	.set _ZL40rocblas_copy_triangular_syrk_herk_kernelILb1ELb1ELb1E19rocblas_complex_numIfEPS1_Li16ELi16EEviT3_ilPT2_i.has_indirect_call, 0
	.section	.AMDGPU.csdata,"",@progbits
; Kernel info:
; codeLenInByte = 496
; TotalNumSgprs: 23
; NumVgprs: 9
; ScratchSize: 0
; MemoryBound: 0
; FloatMode: 240
; IeeeMode: 1
; LDSByteSize: 0 bytes/workgroup (compile time only)
; SGPRBlocks: 0
; VGPRBlocks: 0
; NumSGPRsForWavesPerEU: 23
; NumVGPRsForWavesPerEU: 9
; NamedBarCnt: 0
; Occupancy: 16
; WaveLimiterHint : 0
; COMPUTE_PGM_RSRC2:SCRATCH_EN: 0
; COMPUTE_PGM_RSRC2:USER_SGPR: 2
; COMPUTE_PGM_RSRC2:TRAP_HANDLER: 0
; COMPUTE_PGM_RSRC2:TGID_X_EN: 1
; COMPUTE_PGM_RSRC2:TGID_Y_EN: 1
; COMPUTE_PGM_RSRC2:TGID_Z_EN: 1
; COMPUTE_PGM_RSRC2:TIDIG_COMP_CNT: 1
	.section	.text._ZL40rocblas_copy_triangular_syrk_herk_kernelILb1ELb0ELb1E19rocblas_complex_numIfEPS1_Li16ELi16EEviT3_ilPT2_i,"axG",@progbits,_ZL40rocblas_copy_triangular_syrk_herk_kernelILb1ELb0ELb1E19rocblas_complex_numIfEPS1_Li16ELi16EEviT3_ilPT2_i,comdat
	.globl	_ZL40rocblas_copy_triangular_syrk_herk_kernelILb1ELb0ELb1E19rocblas_complex_numIfEPS1_Li16ELi16EEviT3_ilPT2_i ; -- Begin function _ZL40rocblas_copy_triangular_syrk_herk_kernelILb1ELb0ELb1E19rocblas_complex_numIfEPS1_Li16ELi16EEviT3_ilPT2_i
	.p2align	8
	.type	_ZL40rocblas_copy_triangular_syrk_herk_kernelILb1ELb0ELb1E19rocblas_complex_numIfEPS1_Li16ELi16EEviT3_ilPT2_i,@function
_ZL40rocblas_copy_triangular_syrk_herk_kernelILb1ELb0ELb1E19rocblas_complex_numIfEPS1_Li16ELi16EEviT3_ilPT2_i: ; @_ZL40rocblas_copy_triangular_syrk_herk_kernelILb1ELb0ELb1E19rocblas_complex_numIfEPS1_Li16ELi16EEviT3_ilPT2_i
; %bb.0:
	s_load_b32 s11, s[0:1], 0x28
	s_bfe_u32 s2, ttmp6, 0x40014
	s_lshr_b32 s3, ttmp7, 16
	s_add_co_i32 s2, s2, 1
	s_bfe_u32 s5, ttmp6, 0x40008
	s_mul_i32 s2, s3, s2
	s_getreg_b32 s4, hwreg(HW_REG_IB_STS2, 6, 4)
	s_add_co_i32 s5, s5, s2
	s_cmp_eq_u32 s4, 0
	s_cselect_b32 s2, s3, s5
	s_mov_b32 s3, 0
	s_wait_kmcnt 0x0
	s_cmp_ge_u32 s2, s11
	s_cbranch_scc1 .LBB33_5
; %bb.1:
	s_clause 0x2
	s_load_b32 s14, s[0:1], 0x0
	s_load_b96 s[8:10], s[0:1], 0x8
	s_load_b32 s16, s[0:1], 0x3c
	s_bfe_u32 s12, ttmp6, 0x4000c
	s_bfe_u32 s5, ttmp6, 0x40010
	s_add_co_i32 s12, s12, 1
	s_and_b32 s17, ttmp7, 0xffff
	s_mul_i32 s19, ttmp9, s12
	s_add_co_i32 s5, s5, 1
	s_bfe_u32 s6, ttmp6, 0x40004
	s_mul_i32 s5, s17, s5
	s_mov_b32 s7, s3
	s_add_co_i32 s20, s6, s5
	s_and_b32 s18, ttmp6, 15
	v_and_b32_e32 v1, 0x3ff, v0
	s_add_co_i32 s18, s18, s19
	v_bfe_u32 v0, v0, 10, 10
	s_wait_kmcnt 0x0
	s_add_co_i32 s12, s14, -1
	s_ashr_i32 s15, s14, 31
	s_ashr_i32 s13, s12, 31
	;; [unrolled: 1-line block ×3, first 2 shown]
	s_mul_u64 s[12:13], s[12:13], s[14:15]
	s_lshr_b32 s15, s16, 16
	s_lshr_b32 s6, s13, 31
	s_and_b32 s16, s16, 0xffff
	s_add_nc_u64 s[6:7], s[12:13], s[6:7]
	s_delay_alu instid0(SALU_CYCLE_1)
	s_ashr_i64 s[12:13], s[6:7], 1
	s_cmp_eq_u32 s4, 0
	s_cselect_b32 s4, ttmp9, s18
	s_cselect_b32 s6, s17, s20
	v_mad_u32 v2, s4, s16, v1
	v_mad_u32 v4, s6, s15, v0
	s_mov_b32 s4, s10
	s_delay_alu instid0(VALU_DEP_1) | instskip(SKIP_2) | instid1(VALU_DEP_3)
	v_dual_ashrrev_i32 v3, 31, v2 :: v_dual_max_i32 v9, v4, v2
	v_not_b32_e32 v8, v4
	v_cmp_lt_i32_e32 vcc_lo, v4, v2
	v_mul_u64_e32 v[0:1], s[4:5], v[2:3]
	s_load_b128 s[4:7], s[0:1], 0x18
	s_delay_alu instid0(VALU_DEP_3) | instskip(SKIP_2) | instid1(VALU_DEP_2)
	v_lshl_add_u32 v3, s14, 1, v8
	s_wait_xcnt 0x0
	v_cmp_gt_i32_e64 s0, s14, v9
	v_mul_lo_u32 v3, v3, v4
	s_and_b32 s0, vcc_lo, s0
	s_delay_alu instid0(VALU_DEP_1) | instskip(NEXT) | instid1(VALU_DEP_1)
	v_lshrrev_b32_e32 v5, 31, v3
	v_dual_add_nc_u32 v3, v3, v5 :: v_dual_ashrrev_i32 v5, 31, v4
	s_delay_alu instid0(VALU_DEP_1) | instskip(SKIP_1) | instid1(VALU_DEP_2)
	v_ashrrev_i32_e32 v3, 1, v3
	v_lshl_add_u64 v[6:7], v[0:1], 3, s[8:9]
	v_add3_u32 v0, v2, v8, v3
	s_delay_alu instid0(VALU_DEP_2) | instskip(NEXT) | instid1(VALU_DEP_2)
	v_lshl_add_u64 v[2:3], v[4:5], 3, v[6:7]
	v_ashrrev_i32_e32 v1, 31, v0
	s_branch .LBB33_3
.LBB33_2:                               ;   in Loop: Header=BB33_3 Depth=1
	s_wait_xcnt 0x0
	s_or_b32 exec_lo, exec_lo, s1
	s_add_co_i32 s2, s2, 0x10000
	s_delay_alu instid0(SALU_CYCLE_1)
	s_cmp_lt_u32 s2, s11
	s_cbranch_scc0 .LBB33_5
.LBB33_3:                               ; =>This Inner Loop Header: Depth=1
	s_mul_u64 s[8:9], s[12:13], s[2:3]
	s_delay_alu instid0(SALU_CYCLE_1)
	s_lshl_b64 s[8:9], s[8:9], 3
	s_wait_kmcnt 0x0
	s_add_nc_u64 s[6:7], s[6:7], s[8:9]
	s_and_saveexec_b32 s1, s0
	s_cbranch_execz .LBB33_2
; %bb.4:                                ;   in Loop: Header=BB33_3 Depth=1
	s_mul_u64 s[8:9], s[4:5], s[2:3]
	v_lshl_add_u64 v[6:7], v[0:1], 3, s[6:7]
	v_lshl_add_u64 v[4:5], s[8:9], 3, v[2:3]
	global_load_b64 v[4:5], v[4:5], off
	s_wait_loadcnt 0x0
	global_store_b64 v[6:7], v[4:5], off
	s_branch .LBB33_2
.LBB33_5:
	s_endpgm
	.section	.rodata,"a",@progbits
	.p2align	6, 0x0
	.amdhsa_kernel _ZL40rocblas_copy_triangular_syrk_herk_kernelILb1ELb0ELb1E19rocblas_complex_numIfEPS1_Li16ELi16EEviT3_ilPT2_i
		.amdhsa_group_segment_fixed_size 0
		.amdhsa_private_segment_fixed_size 0
		.amdhsa_kernarg_size 304
		.amdhsa_user_sgpr_count 2
		.amdhsa_user_sgpr_dispatch_ptr 0
		.amdhsa_user_sgpr_queue_ptr 0
		.amdhsa_user_sgpr_kernarg_segment_ptr 1
		.amdhsa_user_sgpr_dispatch_id 0
		.amdhsa_user_sgpr_kernarg_preload_length 0
		.amdhsa_user_sgpr_kernarg_preload_offset 0
		.amdhsa_user_sgpr_private_segment_size 0
		.amdhsa_wavefront_size32 1
		.amdhsa_uses_dynamic_stack 0
		.amdhsa_enable_private_segment 0
		.amdhsa_system_sgpr_workgroup_id_x 1
		.amdhsa_system_sgpr_workgroup_id_y 1
		.amdhsa_system_sgpr_workgroup_id_z 1
		.amdhsa_system_sgpr_workgroup_info 0
		.amdhsa_system_vgpr_workitem_id 1
		.amdhsa_next_free_vgpr 10
		.amdhsa_next_free_sgpr 21
		.amdhsa_named_barrier_count 0
		.amdhsa_reserve_vcc 1
		.amdhsa_float_round_mode_32 0
		.amdhsa_float_round_mode_16_64 0
		.amdhsa_float_denorm_mode_32 3
		.amdhsa_float_denorm_mode_16_64 3
		.amdhsa_fp16_overflow 0
		.amdhsa_memory_ordered 1
		.amdhsa_forward_progress 1
		.amdhsa_inst_pref_size 4
		.amdhsa_round_robin_scheduling 0
		.amdhsa_exception_fp_ieee_invalid_op 0
		.amdhsa_exception_fp_denorm_src 0
		.amdhsa_exception_fp_ieee_div_zero 0
		.amdhsa_exception_fp_ieee_overflow 0
		.amdhsa_exception_fp_ieee_underflow 0
		.amdhsa_exception_fp_ieee_inexact 0
		.amdhsa_exception_int_div_zero 0
	.end_amdhsa_kernel
	.section	.text._ZL40rocblas_copy_triangular_syrk_herk_kernelILb1ELb0ELb1E19rocblas_complex_numIfEPS1_Li16ELi16EEviT3_ilPT2_i,"axG",@progbits,_ZL40rocblas_copy_triangular_syrk_herk_kernelILb1ELb0ELb1E19rocblas_complex_numIfEPS1_Li16ELi16EEviT3_ilPT2_i,comdat
.Lfunc_end33:
	.size	_ZL40rocblas_copy_triangular_syrk_herk_kernelILb1ELb0ELb1E19rocblas_complex_numIfEPS1_Li16ELi16EEviT3_ilPT2_i, .Lfunc_end33-_ZL40rocblas_copy_triangular_syrk_herk_kernelILb1ELb0ELb1E19rocblas_complex_numIfEPS1_Li16ELi16EEviT3_ilPT2_i
                                        ; -- End function
	.set _ZL40rocblas_copy_triangular_syrk_herk_kernelILb1ELb0ELb1E19rocblas_complex_numIfEPS1_Li16ELi16EEviT3_ilPT2_i.num_vgpr, 10
	.set _ZL40rocblas_copy_triangular_syrk_herk_kernelILb1ELb0ELb1E19rocblas_complex_numIfEPS1_Li16ELi16EEviT3_ilPT2_i.num_agpr, 0
	.set _ZL40rocblas_copy_triangular_syrk_herk_kernelILb1ELb0ELb1E19rocblas_complex_numIfEPS1_Li16ELi16EEviT3_ilPT2_i.numbered_sgpr, 21
	.set _ZL40rocblas_copy_triangular_syrk_herk_kernelILb1ELb0ELb1E19rocblas_complex_numIfEPS1_Li16ELi16EEviT3_ilPT2_i.num_named_barrier, 0
	.set _ZL40rocblas_copy_triangular_syrk_herk_kernelILb1ELb0ELb1E19rocblas_complex_numIfEPS1_Li16ELi16EEviT3_ilPT2_i.private_seg_size, 0
	.set _ZL40rocblas_copy_triangular_syrk_herk_kernelILb1ELb0ELb1E19rocblas_complex_numIfEPS1_Li16ELi16EEviT3_ilPT2_i.uses_vcc, 1
	.set _ZL40rocblas_copy_triangular_syrk_herk_kernelILb1ELb0ELb1E19rocblas_complex_numIfEPS1_Li16ELi16EEviT3_ilPT2_i.uses_flat_scratch, 0
	.set _ZL40rocblas_copy_triangular_syrk_herk_kernelILb1ELb0ELb1E19rocblas_complex_numIfEPS1_Li16ELi16EEviT3_ilPT2_i.has_dyn_sized_stack, 0
	.set _ZL40rocblas_copy_triangular_syrk_herk_kernelILb1ELb0ELb1E19rocblas_complex_numIfEPS1_Li16ELi16EEviT3_ilPT2_i.has_recursion, 0
	.set _ZL40rocblas_copy_triangular_syrk_herk_kernelILb1ELb0ELb1E19rocblas_complex_numIfEPS1_Li16ELi16EEviT3_ilPT2_i.has_indirect_call, 0
	.section	.AMDGPU.csdata,"",@progbits
; Kernel info:
; codeLenInByte = 508
; TotalNumSgprs: 23
; NumVgprs: 10
; ScratchSize: 0
; MemoryBound: 0
; FloatMode: 240
; IeeeMode: 1
; LDSByteSize: 0 bytes/workgroup (compile time only)
; SGPRBlocks: 0
; VGPRBlocks: 0
; NumSGPRsForWavesPerEU: 23
; NumVGPRsForWavesPerEU: 10
; NamedBarCnt: 0
; Occupancy: 16
; WaveLimiterHint : 0
; COMPUTE_PGM_RSRC2:SCRATCH_EN: 0
; COMPUTE_PGM_RSRC2:USER_SGPR: 2
; COMPUTE_PGM_RSRC2:TRAP_HANDLER: 0
; COMPUTE_PGM_RSRC2:TGID_X_EN: 1
; COMPUTE_PGM_RSRC2:TGID_Y_EN: 1
; COMPUTE_PGM_RSRC2:TGID_Z_EN: 1
; COMPUTE_PGM_RSRC2:TIDIG_COMP_CNT: 1
	.section	.text._ZL40rocblas_copy_triangular_syrk_herk_kernelILb0ELb1ELb1E19rocblas_complex_numIfEPS1_Li16ELi16EEviT3_ilPT2_i,"axG",@progbits,_ZL40rocblas_copy_triangular_syrk_herk_kernelILb0ELb1ELb1E19rocblas_complex_numIfEPS1_Li16ELi16EEviT3_ilPT2_i,comdat
	.globl	_ZL40rocblas_copy_triangular_syrk_herk_kernelILb0ELb1ELb1E19rocblas_complex_numIfEPS1_Li16ELi16EEviT3_ilPT2_i ; -- Begin function _ZL40rocblas_copy_triangular_syrk_herk_kernelILb0ELb1ELb1E19rocblas_complex_numIfEPS1_Li16ELi16EEviT3_ilPT2_i
	.p2align	8
	.type	_ZL40rocblas_copy_triangular_syrk_herk_kernelILb0ELb1ELb1E19rocblas_complex_numIfEPS1_Li16ELi16EEviT3_ilPT2_i,@function
_ZL40rocblas_copy_triangular_syrk_herk_kernelILb0ELb1ELb1E19rocblas_complex_numIfEPS1_Li16ELi16EEviT3_ilPT2_i: ; @_ZL40rocblas_copy_triangular_syrk_herk_kernelILb0ELb1ELb1E19rocblas_complex_numIfEPS1_Li16ELi16EEviT3_ilPT2_i
; %bb.0:
	s_load_b32 s3, s[0:1], 0x28
	s_bfe_u32 s2, ttmp6, 0x40014
	s_lshr_b32 s4, ttmp7, 16
	s_add_co_i32 s2, s2, 1
	s_bfe_u32 s6, ttmp6, 0x40008
	s_mul_i32 s5, s4, s2
	s_getreg_b32 s2, hwreg(HW_REG_IB_STS2, 6, 4)
	s_add_co_i32 s6, s6, s5
	s_cmp_eq_u32 s2, 0
	s_mov_b32 s13, 0
	s_cselect_b32 s12, s4, s6
	s_wait_kmcnt 0x0
	s_cmp_ge_u32 s12, s3
	s_cbranch_scc1 .LBB34_7
; %bb.1:
	s_clause 0x2
	s_load_b32 s16, s[0:1], 0x0
	s_load_b96 s[8:10], s[0:1], 0x8
	s_load_b32 s11, s[0:1], 0x3c
	s_bfe_u32 s4, ttmp6, 0x40010
	s_and_b32 s18, ttmp7, 0xffff
	s_add_co_i32 s4, s4, 1
	s_bfe_u32 s6, ttmp6, 0x40004
	s_bfe_u32 s7, ttmp6, 0x4000c
	s_mul_i32 s4, s18, s4
	s_add_co_i32 s7, s7, 1
	s_add_co_i32 s20, s6, s4
	s_mul_i32 s15, ttmp9, s7
	s_mov_b32 s5, s13
	s_and_b32 s14, ttmp6, 15
	v_bfe_u32 v1, v0, 10, 10
	s_add_co_i32 s21, s14, s15
	v_and_b32_e32 v2, 0x3ff, v0
	s_wait_kmcnt 0x0
	s_add_co_i32 s6, s16, -1
	s_ashr_i32 s17, s16, 31
	s_ashr_i32 s7, s6, 31
	;; [unrolled: 1-line block ×3, first 2 shown]
	s_mul_u64 s[6:7], s[6:7], s[16:17]
	s_lshr_b32 s17, s11, 16
	s_lshr_b32 s4, s7, 31
	s_delay_alu instid0(SALU_CYCLE_1)
	s_add_nc_u64 s[4:5], s[6:7], s[4:5]
	s_and_b32 s6, s11, 0xffff
	s_ashr_i64 s[14:15], s[4:5], 1
	s_cmp_eq_u32 s2, 0
	s_cselect_b32 s2, s18, s20
	s_mov_b32 s18, s10
	v_mad_u32 v0, s2, s17, v1
	s_cselect_b32 s2, ttmp9, s21
	s_delay_alu instid0(SALU_CYCLE_1) | instskip(SKIP_1) | instid1(VALU_DEP_2)
	v_mad_u32 v8, s2, s6, v2
	s_load_b128 s[4:7], s[0:1], 0x18
	v_add_nc_u32_e32 v1, -1, v0
	v_cmp_gt_i32_e32 vcc_lo, s16, v0
	s_wait_xcnt 0x0
	s_delay_alu instid0(VALU_DEP_3)
	v_cmp_gt_i32_e64 s0, s16, v8
	v_cmp_gt_i32_e64 s1, v0, v8
	v_mul_lo_u32 v1, v1, v0
	v_ashrrev_i32_e32 v9, 31, v8
	v_cmp_eq_u32_e64 s2, v0, v8
	s_and_b32 s0, s0, vcc_lo
	s_and_b32 s2, vcc_lo, s2
	v_lshrrev_b32_e32 v4, 31, v1
	v_mul_u64_e32 v[2:3], s[18:19], v[8:9]
	s_delay_alu instid0(VALU_DEP_2) | instskip(SKIP_1) | instid1(VALU_DEP_2)
	v_add_nc_u32_e32 v4, v1, v4
	v_ashrrev_i32_e32 v1, 31, v0
	v_ashrrev_i32_e32 v6, 1, v4
	s_delay_alu instid0(VALU_DEP_2) | instskip(SKIP_1) | instid1(VALU_DEP_2)
	v_mad_nc_i64_i32 v[4:5], v0, s10, v[0:1]
	s_and_b32 s10, s0, s1
	v_dual_add_nc_u32 v6, v6, v8 :: v_dual_mov_b32 v8, 0
	s_delay_alu instid0(VALU_DEP_1)
	v_ashrrev_i32_e32 v7, 31, v6
	s_branch .LBB34_3
.LBB34_2:                               ;   in Loop: Header=BB34_3 Depth=1
	s_wait_xcnt 0x0
	s_or_b32 exec_lo, exec_lo, s11
	s_add_co_i32 s12, s12, 0x10000
	s_delay_alu instid0(SALU_CYCLE_1)
	s_cmp_lt_u32 s12, s3
	s_cbranch_scc0 .LBB34_7
.LBB34_3:                               ; =>This Inner Loop Header: Depth=1
	s_wait_kmcnt 0x0
	s_mul_u64 s[0:1], s[4:5], s[12:13]
	s_mul_u64 s[16:17], s[14:15], s[12:13]
	s_lshl_b64 s[0:1], s[0:1], 3
	s_lshl_b64 s[16:17], s[16:17], 3
	s_add_nc_u64 s[0:1], s[8:9], s[0:1]
	s_add_nc_u64 s[6:7], s[6:7], s[16:17]
	s_and_saveexec_b32 s11, s10
	s_cbranch_execnz .LBB34_5
; %bb.4:                                ;   in Loop: Header=BB34_3 Depth=1
	s_or_b32 exec_lo, exec_lo, s11
	s_and_saveexec_b32 s11, s2
	s_cbranch_execz .LBB34_2
	s_branch .LBB34_6
.LBB34_5:                               ;   in Loop: Header=BB34_3 Depth=1
	v_lshl_add_u64 v[10:11], v[6:7], 3, s[6:7]
	v_lshl_add_u64 v[12:13], v[2:3], 3, s[0:1]
	global_load_b64 v[10:11], v[10:11], off
	v_lshl_add_u64 v[12:13], v[0:1], 3, v[12:13]
	s_wait_loadcnt 0x0
	global_store_b64 v[12:13], v[10:11], off
	s_wait_xcnt 0x0
	s_or_b32 exec_lo, exec_lo, s11
	s_and_saveexec_b32 s11, s2
	s_cbranch_execz .LBB34_2
.LBB34_6:                               ;   in Loop: Header=BB34_3 Depth=1
	v_lshl_add_u64 v[10:11], v[4:5], 3, s[0:1]
	global_store_b32 v[10:11], v8, off offset:4
	s_branch .LBB34_2
.LBB34_7:
	s_endpgm
	.section	.rodata,"a",@progbits
	.p2align	6, 0x0
	.amdhsa_kernel _ZL40rocblas_copy_triangular_syrk_herk_kernelILb0ELb1ELb1E19rocblas_complex_numIfEPS1_Li16ELi16EEviT3_ilPT2_i
		.amdhsa_group_segment_fixed_size 0
		.amdhsa_private_segment_fixed_size 0
		.amdhsa_kernarg_size 304
		.amdhsa_user_sgpr_count 2
		.amdhsa_user_sgpr_dispatch_ptr 0
		.amdhsa_user_sgpr_queue_ptr 0
		.amdhsa_user_sgpr_kernarg_segment_ptr 1
		.amdhsa_user_sgpr_dispatch_id 0
		.amdhsa_user_sgpr_kernarg_preload_length 0
		.amdhsa_user_sgpr_kernarg_preload_offset 0
		.amdhsa_user_sgpr_private_segment_size 0
		.amdhsa_wavefront_size32 1
		.amdhsa_uses_dynamic_stack 0
		.amdhsa_enable_private_segment 0
		.amdhsa_system_sgpr_workgroup_id_x 1
		.amdhsa_system_sgpr_workgroup_id_y 1
		.amdhsa_system_sgpr_workgroup_id_z 1
		.amdhsa_system_sgpr_workgroup_info 0
		.amdhsa_system_vgpr_workitem_id 1
		.amdhsa_next_free_vgpr 14
		.amdhsa_next_free_sgpr 22
		.amdhsa_named_barrier_count 0
		.amdhsa_reserve_vcc 1
		.amdhsa_float_round_mode_32 0
		.amdhsa_float_round_mode_16_64 0
		.amdhsa_float_denorm_mode_32 3
		.amdhsa_float_denorm_mode_16_64 3
		.amdhsa_fp16_overflow 0
		.amdhsa_memory_ordered 1
		.amdhsa_forward_progress 1
		.amdhsa_inst_pref_size 5
		.amdhsa_round_robin_scheduling 0
		.amdhsa_exception_fp_ieee_invalid_op 0
		.amdhsa_exception_fp_denorm_src 0
		.amdhsa_exception_fp_ieee_div_zero 0
		.amdhsa_exception_fp_ieee_overflow 0
		.amdhsa_exception_fp_ieee_underflow 0
		.amdhsa_exception_fp_ieee_inexact 0
		.amdhsa_exception_int_div_zero 0
	.end_amdhsa_kernel
	.section	.text._ZL40rocblas_copy_triangular_syrk_herk_kernelILb0ELb1ELb1E19rocblas_complex_numIfEPS1_Li16ELi16EEviT3_ilPT2_i,"axG",@progbits,_ZL40rocblas_copy_triangular_syrk_herk_kernelILb0ELb1ELb1E19rocblas_complex_numIfEPS1_Li16ELi16EEviT3_ilPT2_i,comdat
.Lfunc_end34:
	.size	_ZL40rocblas_copy_triangular_syrk_herk_kernelILb0ELb1ELb1E19rocblas_complex_numIfEPS1_Li16ELi16EEviT3_ilPT2_i, .Lfunc_end34-_ZL40rocblas_copy_triangular_syrk_herk_kernelILb0ELb1ELb1E19rocblas_complex_numIfEPS1_Li16ELi16EEviT3_ilPT2_i
                                        ; -- End function
	.set _ZL40rocblas_copy_triangular_syrk_herk_kernelILb0ELb1ELb1E19rocblas_complex_numIfEPS1_Li16ELi16EEviT3_ilPT2_i.num_vgpr, 14
	.set _ZL40rocblas_copy_triangular_syrk_herk_kernelILb0ELb1ELb1E19rocblas_complex_numIfEPS1_Li16ELi16EEviT3_ilPT2_i.num_agpr, 0
	.set _ZL40rocblas_copy_triangular_syrk_herk_kernelILb0ELb1ELb1E19rocblas_complex_numIfEPS1_Li16ELi16EEviT3_ilPT2_i.numbered_sgpr, 22
	.set _ZL40rocblas_copy_triangular_syrk_herk_kernelILb0ELb1ELb1E19rocblas_complex_numIfEPS1_Li16ELi16EEviT3_ilPT2_i.num_named_barrier, 0
	.set _ZL40rocblas_copy_triangular_syrk_herk_kernelILb0ELb1ELb1E19rocblas_complex_numIfEPS1_Li16ELi16EEviT3_ilPT2_i.private_seg_size, 0
	.set _ZL40rocblas_copy_triangular_syrk_herk_kernelILb0ELb1ELb1E19rocblas_complex_numIfEPS1_Li16ELi16EEviT3_ilPT2_i.uses_vcc, 1
	.set _ZL40rocblas_copy_triangular_syrk_herk_kernelILb0ELb1ELb1E19rocblas_complex_numIfEPS1_Li16ELi16EEviT3_ilPT2_i.uses_flat_scratch, 0
	.set _ZL40rocblas_copy_triangular_syrk_herk_kernelILb0ELb1ELb1E19rocblas_complex_numIfEPS1_Li16ELi16EEviT3_ilPT2_i.has_dyn_sized_stack, 0
	.set _ZL40rocblas_copy_triangular_syrk_herk_kernelILb0ELb1ELb1E19rocblas_complex_numIfEPS1_Li16ELi16EEviT3_ilPT2_i.has_recursion, 0
	.set _ZL40rocblas_copy_triangular_syrk_herk_kernelILb0ELb1ELb1E19rocblas_complex_numIfEPS1_Li16ELi16EEviT3_ilPT2_i.has_indirect_call, 0
	.section	.AMDGPU.csdata,"",@progbits
; Kernel info:
; codeLenInByte = 572
; TotalNumSgprs: 24
; NumVgprs: 14
; ScratchSize: 0
; MemoryBound: 0
; FloatMode: 240
; IeeeMode: 1
; LDSByteSize: 0 bytes/workgroup (compile time only)
; SGPRBlocks: 0
; VGPRBlocks: 0
; NumSGPRsForWavesPerEU: 24
; NumVGPRsForWavesPerEU: 14
; NamedBarCnt: 0
; Occupancy: 16
; WaveLimiterHint : 0
; COMPUTE_PGM_RSRC2:SCRATCH_EN: 0
; COMPUTE_PGM_RSRC2:USER_SGPR: 2
; COMPUTE_PGM_RSRC2:TRAP_HANDLER: 0
; COMPUTE_PGM_RSRC2:TGID_X_EN: 1
; COMPUTE_PGM_RSRC2:TGID_Y_EN: 1
; COMPUTE_PGM_RSRC2:TGID_Z_EN: 1
; COMPUTE_PGM_RSRC2:TIDIG_COMP_CNT: 1
	.section	.text._ZL40rocblas_copy_triangular_syrk_herk_kernelILb0ELb0ELb1E19rocblas_complex_numIfEPS1_Li16ELi16EEviT3_ilPT2_i,"axG",@progbits,_ZL40rocblas_copy_triangular_syrk_herk_kernelILb0ELb0ELb1E19rocblas_complex_numIfEPS1_Li16ELi16EEviT3_ilPT2_i,comdat
	.globl	_ZL40rocblas_copy_triangular_syrk_herk_kernelILb0ELb0ELb1E19rocblas_complex_numIfEPS1_Li16ELi16EEviT3_ilPT2_i ; -- Begin function _ZL40rocblas_copy_triangular_syrk_herk_kernelILb0ELb0ELb1E19rocblas_complex_numIfEPS1_Li16ELi16EEviT3_ilPT2_i
	.p2align	8
	.type	_ZL40rocblas_copy_triangular_syrk_herk_kernelILb0ELb0ELb1E19rocblas_complex_numIfEPS1_Li16ELi16EEviT3_ilPT2_i,@function
_ZL40rocblas_copy_triangular_syrk_herk_kernelILb0ELb0ELb1E19rocblas_complex_numIfEPS1_Li16ELi16EEviT3_ilPT2_i: ; @_ZL40rocblas_copy_triangular_syrk_herk_kernelILb0ELb0ELb1E19rocblas_complex_numIfEPS1_Li16ELi16EEviT3_ilPT2_i
; %bb.0:
	s_load_b32 s3, s[0:1], 0x28
	s_bfe_u32 s2, ttmp6, 0x40014
	s_lshr_b32 s4, ttmp7, 16
	s_add_co_i32 s2, s2, 1
	s_bfe_u32 s6, ttmp6, 0x40008
	s_mul_i32 s5, s4, s2
	s_getreg_b32 s2, hwreg(HW_REG_IB_STS2, 6, 4)
	s_add_co_i32 s6, s6, s5
	s_cmp_eq_u32 s2, 0
	s_mov_b32 s13, 0
	s_cselect_b32 s12, s4, s6
	s_wait_kmcnt 0x0
	s_cmp_ge_u32 s12, s3
	s_cbranch_scc1 .LBB35_7
; %bb.1:
	s_clause 0x2
	s_load_b32 s16, s[0:1], 0x0
	s_load_b96 s[8:10], s[0:1], 0x8
	s_load_b32 s11, s[0:1], 0x3c
	s_bfe_u32 s4, ttmp6, 0x40010
	s_and_b32 s18, ttmp7, 0xffff
	s_add_co_i32 s4, s4, 1
	s_bfe_u32 s6, ttmp6, 0x40004
	s_bfe_u32 s7, ttmp6, 0x4000c
	s_mul_i32 s4, s18, s4
	s_add_co_i32 s7, s7, 1
	s_add_co_i32 s20, s6, s4
	s_mul_i32 s15, ttmp9, s7
	s_mov_b32 s5, s13
	s_and_b32 s14, ttmp6, 15
	v_bfe_u32 v1, v0, 10, 10
	s_add_co_i32 s21, s14, s15
	v_and_b32_e32 v0, 0x3ff, v0
	s_wait_kmcnt 0x0
	s_add_co_i32 s6, s16, -1
	s_ashr_i32 s17, s16, 31
	s_ashr_i32 s7, s6, 31
	s_ashr_i32 s19, s10, 31
	s_mul_u64 s[6:7], s[6:7], s[16:17]
	s_lshr_b32 s17, s11, 16
	s_lshr_b32 s4, s7, 31
	s_delay_alu instid0(SALU_CYCLE_1)
	s_add_nc_u64 s[4:5], s[6:7], s[4:5]
	s_and_b32 s6, s11, 0xffff
	s_ashr_i64 s[14:15], s[4:5], 1
	s_cmp_eq_u32 s2, 0
	s_cselect_b32 s2, s18, s20
	s_mov_b32 s18, s10
	v_mad_u32 v2, s2, s17, v1
	s_cselect_b32 s2, ttmp9, s21
	s_delay_alu instid0(SALU_CYCLE_1) | instskip(SKIP_1) | instid1(VALU_DEP_2)
	v_mad_u32 v8, s2, s6, v0
	s_load_b128 s[4:7], s[0:1], 0x18
	v_not_b32_e32 v6, v2
	v_cmp_gt_i32_e32 vcc_lo, s16, v2
	s_wait_xcnt 0x0
	s_delay_alu instid0(VALU_DEP_3) | instskip(SKIP_3) | instid1(VALU_DEP_2)
	v_cmp_gt_i32_e64 s0, s16, v8
	v_cmp_lt_i32_e64 s1, v2, v8
	v_lshl_add_u32 v0, s16, 1, v6
	v_cmp_eq_u32_e64 s2, v2, v8
	v_mul_lo_u32 v3, v0, v2
	v_ashrrev_i32_e32 v9, 31, v8
	s_and_b32 s2, vcc_lo, s2
	s_delay_alu instid0(VALU_DEP_2) | instskip(NEXT) | instid1(VALU_DEP_2)
	v_lshrrev_b32_e32 v4, 31, v3
	v_mul_u64_e32 v[0:1], s[18:19], v[8:9]
	s_delay_alu instid0(VALU_DEP_2) | instskip(NEXT) | instid1(VALU_DEP_1)
	v_dual_add_nc_u32 v4, v3, v4 :: v_dual_ashrrev_i32 v3, 31, v2
	v_ashrrev_i32_e32 v7, 1, v4
	s_delay_alu instid0(VALU_DEP_2) | instskip(SKIP_1) | instid1(VALU_DEP_2)
	v_mad_nc_i64_i32 v[4:5], v2, s10, v[2:3]
	s_and_b32 s10, s0, s1
	v_add3_u32 v6, v8, v6, v7
	s_delay_alu instid0(VALU_DEP_1)
	v_dual_mov_b32 v8, 0 :: v_dual_ashrrev_i32 v7, 31, v6
	s_branch .LBB35_3
.LBB35_2:                               ;   in Loop: Header=BB35_3 Depth=1
	s_wait_xcnt 0x0
	s_or_b32 exec_lo, exec_lo, s11
	s_add_co_i32 s12, s12, 0x10000
	s_delay_alu instid0(SALU_CYCLE_1)
	s_cmp_lt_u32 s12, s3
	s_cbranch_scc0 .LBB35_7
.LBB35_3:                               ; =>This Inner Loop Header: Depth=1
	s_wait_kmcnt 0x0
	s_mul_u64 s[0:1], s[4:5], s[12:13]
	s_mul_u64 s[16:17], s[14:15], s[12:13]
	s_lshl_b64 s[0:1], s[0:1], 3
	s_lshl_b64 s[16:17], s[16:17], 3
	s_add_nc_u64 s[0:1], s[8:9], s[0:1]
	s_add_nc_u64 s[6:7], s[6:7], s[16:17]
	s_and_saveexec_b32 s11, s10
	s_cbranch_execnz .LBB35_5
; %bb.4:                                ;   in Loop: Header=BB35_3 Depth=1
	s_or_b32 exec_lo, exec_lo, s11
	s_and_saveexec_b32 s11, s2
	s_cbranch_execz .LBB35_2
	s_branch .LBB35_6
.LBB35_5:                               ;   in Loop: Header=BB35_3 Depth=1
	v_lshl_add_u64 v[10:11], v[6:7], 3, s[6:7]
	v_lshl_add_u64 v[12:13], v[0:1], 3, s[0:1]
	global_load_b64 v[10:11], v[10:11], off
	v_lshl_add_u64 v[12:13], v[2:3], 3, v[12:13]
	s_wait_loadcnt 0x0
	global_store_b64 v[12:13], v[10:11], off
	s_wait_xcnt 0x0
	s_or_b32 exec_lo, exec_lo, s11
	s_and_saveexec_b32 s11, s2
	s_cbranch_execz .LBB35_2
.LBB35_6:                               ;   in Loop: Header=BB35_3 Depth=1
	v_lshl_add_u64 v[10:11], v[4:5], 3, s[0:1]
	global_store_b32 v[10:11], v8, off offset:4
	s_branch .LBB35_2
.LBB35_7:
	s_endpgm
	.section	.rodata,"a",@progbits
	.p2align	6, 0x0
	.amdhsa_kernel _ZL40rocblas_copy_triangular_syrk_herk_kernelILb0ELb0ELb1E19rocblas_complex_numIfEPS1_Li16ELi16EEviT3_ilPT2_i
		.amdhsa_group_segment_fixed_size 0
		.amdhsa_private_segment_fixed_size 0
		.amdhsa_kernarg_size 304
		.amdhsa_user_sgpr_count 2
		.amdhsa_user_sgpr_dispatch_ptr 0
		.amdhsa_user_sgpr_queue_ptr 0
		.amdhsa_user_sgpr_kernarg_segment_ptr 1
		.amdhsa_user_sgpr_dispatch_id 0
		.amdhsa_user_sgpr_kernarg_preload_length 0
		.amdhsa_user_sgpr_kernarg_preload_offset 0
		.amdhsa_user_sgpr_private_segment_size 0
		.amdhsa_wavefront_size32 1
		.amdhsa_uses_dynamic_stack 0
		.amdhsa_enable_private_segment 0
		.amdhsa_system_sgpr_workgroup_id_x 1
		.amdhsa_system_sgpr_workgroup_id_y 1
		.amdhsa_system_sgpr_workgroup_id_z 1
		.amdhsa_system_sgpr_workgroup_info 0
		.amdhsa_system_vgpr_workitem_id 1
		.amdhsa_next_free_vgpr 14
		.amdhsa_next_free_sgpr 22
		.amdhsa_named_barrier_count 0
		.amdhsa_reserve_vcc 1
		.amdhsa_float_round_mode_32 0
		.amdhsa_float_round_mode_16_64 0
		.amdhsa_float_denorm_mode_32 3
		.amdhsa_float_denorm_mode_16_64 3
		.amdhsa_fp16_overflow 0
		.amdhsa_memory_ordered 1
		.amdhsa_forward_progress 1
		.amdhsa_inst_pref_size 5
		.amdhsa_round_robin_scheduling 0
		.amdhsa_exception_fp_ieee_invalid_op 0
		.amdhsa_exception_fp_denorm_src 0
		.amdhsa_exception_fp_ieee_div_zero 0
		.amdhsa_exception_fp_ieee_overflow 0
		.amdhsa_exception_fp_ieee_underflow 0
		.amdhsa_exception_fp_ieee_inexact 0
		.amdhsa_exception_int_div_zero 0
	.end_amdhsa_kernel
	.section	.text._ZL40rocblas_copy_triangular_syrk_herk_kernelILb0ELb0ELb1E19rocblas_complex_numIfEPS1_Li16ELi16EEviT3_ilPT2_i,"axG",@progbits,_ZL40rocblas_copy_triangular_syrk_herk_kernelILb0ELb0ELb1E19rocblas_complex_numIfEPS1_Li16ELi16EEviT3_ilPT2_i,comdat
.Lfunc_end35:
	.size	_ZL40rocblas_copy_triangular_syrk_herk_kernelILb0ELb0ELb1E19rocblas_complex_numIfEPS1_Li16ELi16EEviT3_ilPT2_i, .Lfunc_end35-_ZL40rocblas_copy_triangular_syrk_herk_kernelILb0ELb0ELb1E19rocblas_complex_numIfEPS1_Li16ELi16EEviT3_ilPT2_i
                                        ; -- End function
	.set _ZL40rocblas_copy_triangular_syrk_herk_kernelILb0ELb0ELb1E19rocblas_complex_numIfEPS1_Li16ELi16EEviT3_ilPT2_i.num_vgpr, 14
	.set _ZL40rocblas_copy_triangular_syrk_herk_kernelILb0ELb0ELb1E19rocblas_complex_numIfEPS1_Li16ELi16EEviT3_ilPT2_i.num_agpr, 0
	.set _ZL40rocblas_copy_triangular_syrk_herk_kernelILb0ELb0ELb1E19rocblas_complex_numIfEPS1_Li16ELi16EEviT3_ilPT2_i.numbered_sgpr, 22
	.set _ZL40rocblas_copy_triangular_syrk_herk_kernelILb0ELb0ELb1E19rocblas_complex_numIfEPS1_Li16ELi16EEviT3_ilPT2_i.num_named_barrier, 0
	.set _ZL40rocblas_copy_triangular_syrk_herk_kernelILb0ELb0ELb1E19rocblas_complex_numIfEPS1_Li16ELi16EEviT3_ilPT2_i.private_seg_size, 0
	.set _ZL40rocblas_copy_triangular_syrk_herk_kernelILb0ELb0ELb1E19rocblas_complex_numIfEPS1_Li16ELi16EEviT3_ilPT2_i.uses_vcc, 1
	.set _ZL40rocblas_copy_triangular_syrk_herk_kernelILb0ELb0ELb1E19rocblas_complex_numIfEPS1_Li16ELi16EEviT3_ilPT2_i.uses_flat_scratch, 0
	.set _ZL40rocblas_copy_triangular_syrk_herk_kernelILb0ELb0ELb1E19rocblas_complex_numIfEPS1_Li16ELi16EEviT3_ilPT2_i.has_dyn_sized_stack, 0
	.set _ZL40rocblas_copy_triangular_syrk_herk_kernelILb0ELb0ELb1E19rocblas_complex_numIfEPS1_Li16ELi16EEviT3_ilPT2_i.has_recursion, 0
	.set _ZL40rocblas_copy_triangular_syrk_herk_kernelILb0ELb0ELb1E19rocblas_complex_numIfEPS1_Li16ELi16EEviT3_ilPT2_i.has_indirect_call, 0
	.section	.AMDGPU.csdata,"",@progbits
; Kernel info:
; codeLenInByte = 584
; TotalNumSgprs: 24
; NumVgprs: 14
; ScratchSize: 0
; MemoryBound: 0
; FloatMode: 240
; IeeeMode: 1
; LDSByteSize: 0 bytes/workgroup (compile time only)
; SGPRBlocks: 0
; VGPRBlocks: 0
; NumSGPRsForWavesPerEU: 24
; NumVGPRsForWavesPerEU: 14
; NamedBarCnt: 0
; Occupancy: 16
; WaveLimiterHint : 0
; COMPUTE_PGM_RSRC2:SCRATCH_EN: 0
; COMPUTE_PGM_RSRC2:USER_SGPR: 2
; COMPUTE_PGM_RSRC2:TRAP_HANDLER: 0
; COMPUTE_PGM_RSRC2:TGID_X_EN: 1
; COMPUTE_PGM_RSRC2:TGID_Y_EN: 1
; COMPUTE_PGM_RSRC2:TGID_Z_EN: 1
; COMPUTE_PGM_RSRC2:TIDIG_COMP_CNT: 1
	.section	.text._ZL40rocblas_copy_triangular_syrk_herk_kernelILb1ELb1ELb1E19rocblas_complex_numIdEPS1_Li16ELi16EEviT3_ilPT2_i,"axG",@progbits,_ZL40rocblas_copy_triangular_syrk_herk_kernelILb1ELb1ELb1E19rocblas_complex_numIdEPS1_Li16ELi16EEviT3_ilPT2_i,comdat
	.globl	_ZL40rocblas_copy_triangular_syrk_herk_kernelILb1ELb1ELb1E19rocblas_complex_numIdEPS1_Li16ELi16EEviT3_ilPT2_i ; -- Begin function _ZL40rocblas_copy_triangular_syrk_herk_kernelILb1ELb1ELb1E19rocblas_complex_numIdEPS1_Li16ELi16EEviT3_ilPT2_i
	.p2align	8
	.type	_ZL40rocblas_copy_triangular_syrk_herk_kernelILb1ELb1ELb1E19rocblas_complex_numIdEPS1_Li16ELi16EEviT3_ilPT2_i,@function
_ZL40rocblas_copy_triangular_syrk_herk_kernelILb1ELb1ELb1E19rocblas_complex_numIdEPS1_Li16ELi16EEviT3_ilPT2_i: ; @_ZL40rocblas_copy_triangular_syrk_herk_kernelILb1ELb1ELb1E19rocblas_complex_numIdEPS1_Li16ELi16EEviT3_ilPT2_i
; %bb.0:
	s_load_b32 s11, s[0:1], 0x28
	s_bfe_u32 s2, ttmp6, 0x40014
	s_lshr_b32 s3, ttmp7, 16
	s_add_co_i32 s2, s2, 1
	s_bfe_u32 s5, ttmp6, 0x40008
	s_mul_i32 s2, s3, s2
	s_getreg_b32 s4, hwreg(HW_REG_IB_STS2, 6, 4)
	s_add_co_i32 s5, s5, s2
	s_cmp_eq_u32 s4, 0
	s_cselect_b32 s2, s3, s5
	s_mov_b32 s3, 0
	s_wait_kmcnt 0x0
	s_cmp_ge_u32 s2, s11
	s_cbranch_scc1 .LBB36_5
; %bb.1:
	s_clause 0x2
	s_load_b32 s14, s[0:1], 0x0
	s_load_b96 s[8:10], s[0:1], 0x8
	s_load_b32 s16, s[0:1], 0x3c
	s_bfe_u32 s12, ttmp6, 0x4000c
	s_bfe_u32 s5, ttmp6, 0x40010
	s_add_co_i32 s12, s12, 1
	s_and_b32 s17, ttmp7, 0xffff
	s_mul_i32 s19, ttmp9, s12
	s_add_co_i32 s5, s5, 1
	s_bfe_u32 s6, ttmp6, 0x40004
	s_mul_i32 s5, s17, s5
	s_mov_b32 s7, s3
	s_add_co_i32 s20, s6, s5
	s_and_b32 s18, ttmp6, 15
	v_and_b32_e32 v1, 0x3ff, v0
	s_add_co_i32 s18, s18, s19
	v_bfe_u32 v0, v0, 10, 10
	s_wait_kmcnt 0x0
	s_add_co_i32 s12, s14, -1
	s_ashr_i32 s15, s14, 31
	s_ashr_i32 s13, s12, 31
	;; [unrolled: 1-line block ×3, first 2 shown]
	s_mul_u64 s[12:13], s[12:13], s[14:15]
	s_lshr_b32 s15, s16, 16
	s_lshr_b32 s6, s13, 31
	s_and_b32 s16, s16, 0xffff
	s_add_nc_u64 s[6:7], s[12:13], s[6:7]
	s_delay_alu instid0(SALU_CYCLE_1) | instskip(SKIP_2) | instid1(SALU_CYCLE_1)
	s_ashr_i64 s[12:13], s[6:7], 1
	s_cmp_eq_u32 s4, 0
	s_cselect_b32 s4, ttmp9, s18
	v_mad_u32 v2, s4, s16, v1
	s_cselect_b32 s4, s17, s20
	s_delay_alu instid0(SALU_CYCLE_1) | instskip(SKIP_1) | instid1(VALU_DEP_1)
	v_mad_u32 v4, s4, s15, v0
	s_mov_b32 s4, s10
	v_dual_ashrrev_i32 v3, 31, v2 :: v_dual_max_i32 v8, v4, v2
	v_cmp_gt_i32_e32 vcc_lo, v4, v2
	s_delay_alu instid0(VALU_DEP_2) | instskip(SKIP_4) | instid1(VALU_DEP_2)
	v_mul_u64_e32 v[0:1], s[4:5], v[2:3]
	v_add_nc_u32_e32 v3, -1, v4
	s_load_b128 s[4:7], s[0:1], 0x18
	s_wait_xcnt 0x0
	v_cmp_gt_i32_e64 s0, s14, v8
	v_mul_lo_u32 v3, v3, v4
	s_and_b32 s0, vcc_lo, s0
	s_delay_alu instid0(VALU_DEP_1) | instskip(NEXT) | instid1(VALU_DEP_1)
	v_lshrrev_b32_e32 v5, 31, v3
	v_dual_add_nc_u32 v3, v3, v5 :: v_dual_ashrrev_i32 v5, 31, v4
	s_delay_alu instid0(VALU_DEP_1) | instskip(SKIP_1) | instid1(VALU_DEP_2)
	v_ashrrev_i32_e32 v3, 1, v3
	v_lshl_add_u64 v[6:7], v[0:1], 4, s[8:9]
	v_add_nc_u32_e32 v0, v3, v2
	s_delay_alu instid0(VALU_DEP_2) | instskip(NEXT) | instid1(VALU_DEP_2)
	v_lshl_add_u64 v[2:3], v[4:5], 4, v[6:7]
	v_ashrrev_i32_e32 v1, 31, v0
	s_branch .LBB36_3
.LBB36_2:                               ;   in Loop: Header=BB36_3 Depth=1
	s_wait_xcnt 0x0
	s_or_b32 exec_lo, exec_lo, s1
	s_add_co_i32 s2, s2, 0x10000
	s_delay_alu instid0(SALU_CYCLE_1)
	s_cmp_lt_u32 s2, s11
	s_cbranch_scc0 .LBB36_5
.LBB36_3:                               ; =>This Inner Loop Header: Depth=1
	s_mul_u64 s[8:9], s[12:13], s[2:3]
	s_delay_alu instid0(SALU_CYCLE_1)
	s_lshl_b64 s[8:9], s[8:9], 4
	s_wait_kmcnt 0x0
	s_add_nc_u64 s[6:7], s[6:7], s[8:9]
	s_and_saveexec_b32 s1, s0
	s_cbranch_execz .LBB36_2
; %bb.4:                                ;   in Loop: Header=BB36_3 Depth=1
	s_mul_u64 s[8:9], s[4:5], s[2:3]
	v_lshl_add_u64 v[8:9], v[0:1], 4, s[6:7]
	v_lshl_add_u64 v[4:5], s[8:9], 4, v[2:3]
	global_load_b128 v[4:7], v[4:5], off
	s_wait_loadcnt 0x0
	global_store_b128 v[8:9], v[4:7], off
	s_branch .LBB36_2
.LBB36_5:
	s_endpgm
	.section	.rodata,"a",@progbits
	.p2align	6, 0x0
	.amdhsa_kernel _ZL40rocblas_copy_triangular_syrk_herk_kernelILb1ELb1ELb1E19rocblas_complex_numIdEPS1_Li16ELi16EEviT3_ilPT2_i
		.amdhsa_group_segment_fixed_size 0
		.amdhsa_private_segment_fixed_size 0
		.amdhsa_kernarg_size 304
		.amdhsa_user_sgpr_count 2
		.amdhsa_user_sgpr_dispatch_ptr 0
		.amdhsa_user_sgpr_queue_ptr 0
		.amdhsa_user_sgpr_kernarg_segment_ptr 1
		.amdhsa_user_sgpr_dispatch_id 0
		.amdhsa_user_sgpr_kernarg_preload_length 0
		.amdhsa_user_sgpr_kernarg_preload_offset 0
		.amdhsa_user_sgpr_private_segment_size 0
		.amdhsa_wavefront_size32 1
		.amdhsa_uses_dynamic_stack 0
		.amdhsa_enable_private_segment 0
		.amdhsa_system_sgpr_workgroup_id_x 1
		.amdhsa_system_sgpr_workgroup_id_y 1
		.amdhsa_system_sgpr_workgroup_id_z 1
		.amdhsa_system_sgpr_workgroup_info 0
		.amdhsa_system_vgpr_workitem_id 1
		.amdhsa_next_free_vgpr 10
		.amdhsa_next_free_sgpr 21
		.amdhsa_named_barrier_count 0
		.amdhsa_reserve_vcc 1
		.amdhsa_float_round_mode_32 0
		.amdhsa_float_round_mode_16_64 0
		.amdhsa_float_denorm_mode_32 3
		.amdhsa_float_denorm_mode_16_64 3
		.amdhsa_fp16_overflow 0
		.amdhsa_memory_ordered 1
		.amdhsa_forward_progress 1
		.amdhsa_inst_pref_size 4
		.amdhsa_round_robin_scheduling 0
		.amdhsa_exception_fp_ieee_invalid_op 0
		.amdhsa_exception_fp_denorm_src 0
		.amdhsa_exception_fp_ieee_div_zero 0
		.amdhsa_exception_fp_ieee_overflow 0
		.amdhsa_exception_fp_ieee_underflow 0
		.amdhsa_exception_fp_ieee_inexact 0
		.amdhsa_exception_int_div_zero 0
	.end_amdhsa_kernel
	.section	.text._ZL40rocblas_copy_triangular_syrk_herk_kernelILb1ELb1ELb1E19rocblas_complex_numIdEPS1_Li16ELi16EEviT3_ilPT2_i,"axG",@progbits,_ZL40rocblas_copy_triangular_syrk_herk_kernelILb1ELb1ELb1E19rocblas_complex_numIdEPS1_Li16ELi16EEviT3_ilPT2_i,comdat
.Lfunc_end36:
	.size	_ZL40rocblas_copy_triangular_syrk_herk_kernelILb1ELb1ELb1E19rocblas_complex_numIdEPS1_Li16ELi16EEviT3_ilPT2_i, .Lfunc_end36-_ZL40rocblas_copy_triangular_syrk_herk_kernelILb1ELb1ELb1E19rocblas_complex_numIdEPS1_Li16ELi16EEviT3_ilPT2_i
                                        ; -- End function
	.set _ZL40rocblas_copy_triangular_syrk_herk_kernelILb1ELb1ELb1E19rocblas_complex_numIdEPS1_Li16ELi16EEviT3_ilPT2_i.num_vgpr, 10
	.set _ZL40rocblas_copy_triangular_syrk_herk_kernelILb1ELb1ELb1E19rocblas_complex_numIdEPS1_Li16ELi16EEviT3_ilPT2_i.num_agpr, 0
	.set _ZL40rocblas_copy_triangular_syrk_herk_kernelILb1ELb1ELb1E19rocblas_complex_numIdEPS1_Li16ELi16EEviT3_ilPT2_i.numbered_sgpr, 21
	.set _ZL40rocblas_copy_triangular_syrk_herk_kernelILb1ELb1ELb1E19rocblas_complex_numIdEPS1_Li16ELi16EEviT3_ilPT2_i.num_named_barrier, 0
	.set _ZL40rocblas_copy_triangular_syrk_herk_kernelILb1ELb1ELb1E19rocblas_complex_numIdEPS1_Li16ELi16EEviT3_ilPT2_i.private_seg_size, 0
	.set _ZL40rocblas_copy_triangular_syrk_herk_kernelILb1ELb1ELb1E19rocblas_complex_numIdEPS1_Li16ELi16EEviT3_ilPT2_i.uses_vcc, 1
	.set _ZL40rocblas_copy_triangular_syrk_herk_kernelILb1ELb1ELb1E19rocblas_complex_numIdEPS1_Li16ELi16EEviT3_ilPT2_i.uses_flat_scratch, 0
	.set _ZL40rocblas_copy_triangular_syrk_herk_kernelILb1ELb1ELb1E19rocblas_complex_numIdEPS1_Li16ELi16EEviT3_ilPT2_i.has_dyn_sized_stack, 0
	.set _ZL40rocblas_copy_triangular_syrk_herk_kernelILb1ELb1ELb1E19rocblas_complex_numIdEPS1_Li16ELi16EEviT3_ilPT2_i.has_recursion, 0
	.set _ZL40rocblas_copy_triangular_syrk_herk_kernelILb1ELb1ELb1E19rocblas_complex_numIdEPS1_Li16ELi16EEviT3_ilPT2_i.has_indirect_call, 0
	.section	.AMDGPU.csdata,"",@progbits
; Kernel info:
; codeLenInByte = 496
; TotalNumSgprs: 23
; NumVgprs: 10
; ScratchSize: 0
; MemoryBound: 0
; FloatMode: 240
; IeeeMode: 1
; LDSByteSize: 0 bytes/workgroup (compile time only)
; SGPRBlocks: 0
; VGPRBlocks: 0
; NumSGPRsForWavesPerEU: 23
; NumVGPRsForWavesPerEU: 10
; NamedBarCnt: 0
; Occupancy: 16
; WaveLimiterHint : 0
; COMPUTE_PGM_RSRC2:SCRATCH_EN: 0
; COMPUTE_PGM_RSRC2:USER_SGPR: 2
; COMPUTE_PGM_RSRC2:TRAP_HANDLER: 0
; COMPUTE_PGM_RSRC2:TGID_X_EN: 1
; COMPUTE_PGM_RSRC2:TGID_Y_EN: 1
; COMPUTE_PGM_RSRC2:TGID_Z_EN: 1
; COMPUTE_PGM_RSRC2:TIDIG_COMP_CNT: 1
	.section	.text._ZL40rocblas_copy_triangular_syrk_herk_kernelILb1ELb0ELb1E19rocblas_complex_numIdEPS1_Li16ELi16EEviT3_ilPT2_i,"axG",@progbits,_ZL40rocblas_copy_triangular_syrk_herk_kernelILb1ELb0ELb1E19rocblas_complex_numIdEPS1_Li16ELi16EEviT3_ilPT2_i,comdat
	.globl	_ZL40rocblas_copy_triangular_syrk_herk_kernelILb1ELb0ELb1E19rocblas_complex_numIdEPS1_Li16ELi16EEviT3_ilPT2_i ; -- Begin function _ZL40rocblas_copy_triangular_syrk_herk_kernelILb1ELb0ELb1E19rocblas_complex_numIdEPS1_Li16ELi16EEviT3_ilPT2_i
	.p2align	8
	.type	_ZL40rocblas_copy_triangular_syrk_herk_kernelILb1ELb0ELb1E19rocblas_complex_numIdEPS1_Li16ELi16EEviT3_ilPT2_i,@function
_ZL40rocblas_copy_triangular_syrk_herk_kernelILb1ELb0ELb1E19rocblas_complex_numIdEPS1_Li16ELi16EEviT3_ilPT2_i: ; @_ZL40rocblas_copy_triangular_syrk_herk_kernelILb1ELb0ELb1E19rocblas_complex_numIdEPS1_Li16ELi16EEviT3_ilPT2_i
; %bb.0:
	s_load_b32 s11, s[0:1], 0x28
	s_bfe_u32 s2, ttmp6, 0x40014
	s_lshr_b32 s3, ttmp7, 16
	s_add_co_i32 s2, s2, 1
	s_bfe_u32 s5, ttmp6, 0x40008
	s_mul_i32 s2, s3, s2
	s_getreg_b32 s4, hwreg(HW_REG_IB_STS2, 6, 4)
	s_add_co_i32 s5, s5, s2
	s_cmp_eq_u32 s4, 0
	s_cselect_b32 s2, s3, s5
	s_mov_b32 s3, 0
	s_wait_kmcnt 0x0
	s_cmp_ge_u32 s2, s11
	s_cbranch_scc1 .LBB37_5
; %bb.1:
	s_clause 0x2
	s_load_b32 s14, s[0:1], 0x0
	s_load_b96 s[8:10], s[0:1], 0x8
	s_load_b32 s16, s[0:1], 0x3c
	s_bfe_u32 s12, ttmp6, 0x4000c
	s_bfe_u32 s5, ttmp6, 0x40010
	s_add_co_i32 s12, s12, 1
	s_and_b32 s17, ttmp7, 0xffff
	s_mul_i32 s19, ttmp9, s12
	s_add_co_i32 s5, s5, 1
	s_bfe_u32 s6, ttmp6, 0x40004
	s_mul_i32 s5, s17, s5
	s_mov_b32 s7, s3
	s_add_co_i32 s20, s6, s5
	s_and_b32 s18, ttmp6, 15
	v_and_b32_e32 v1, 0x3ff, v0
	s_add_co_i32 s18, s18, s19
	v_bfe_u32 v0, v0, 10, 10
	s_wait_kmcnt 0x0
	s_add_co_i32 s12, s14, -1
	s_ashr_i32 s15, s14, 31
	s_ashr_i32 s13, s12, 31
	;; [unrolled: 1-line block ×3, first 2 shown]
	s_mul_u64 s[12:13], s[12:13], s[14:15]
	s_lshr_b32 s15, s16, 16
	s_lshr_b32 s6, s13, 31
	s_and_b32 s16, s16, 0xffff
	s_add_nc_u64 s[6:7], s[12:13], s[6:7]
	s_delay_alu instid0(SALU_CYCLE_1)
	s_ashr_i64 s[12:13], s[6:7], 1
	s_cmp_eq_u32 s4, 0
	s_cselect_b32 s4, ttmp9, s18
	s_cselect_b32 s6, s17, s20
	v_mad_u32 v2, s4, s16, v1
	v_mad_u32 v4, s6, s15, v0
	s_mov_b32 s4, s10
	s_delay_alu instid0(VALU_DEP_1) | instskip(SKIP_2) | instid1(VALU_DEP_3)
	v_dual_ashrrev_i32 v3, 31, v2 :: v_dual_max_i32 v9, v4, v2
	v_not_b32_e32 v8, v4
	v_cmp_lt_i32_e32 vcc_lo, v4, v2
	v_mul_u64_e32 v[0:1], s[4:5], v[2:3]
	s_load_b128 s[4:7], s[0:1], 0x18
	s_delay_alu instid0(VALU_DEP_3) | instskip(SKIP_2) | instid1(VALU_DEP_2)
	v_lshl_add_u32 v3, s14, 1, v8
	s_wait_xcnt 0x0
	v_cmp_gt_i32_e64 s0, s14, v9
	v_mul_lo_u32 v3, v3, v4
	s_and_b32 s0, vcc_lo, s0
	s_delay_alu instid0(VALU_DEP_1) | instskip(NEXT) | instid1(VALU_DEP_1)
	v_lshrrev_b32_e32 v5, 31, v3
	v_dual_add_nc_u32 v3, v3, v5 :: v_dual_ashrrev_i32 v5, 31, v4
	s_delay_alu instid0(VALU_DEP_1) | instskip(SKIP_1) | instid1(VALU_DEP_2)
	v_ashrrev_i32_e32 v3, 1, v3
	v_lshl_add_u64 v[6:7], v[0:1], 4, s[8:9]
	v_add3_u32 v0, v2, v8, v3
	s_delay_alu instid0(VALU_DEP_2) | instskip(NEXT) | instid1(VALU_DEP_2)
	v_lshl_add_u64 v[2:3], v[4:5], 4, v[6:7]
	v_ashrrev_i32_e32 v1, 31, v0
	s_branch .LBB37_3
.LBB37_2:                               ;   in Loop: Header=BB37_3 Depth=1
	s_wait_xcnt 0x0
	s_or_b32 exec_lo, exec_lo, s1
	s_add_co_i32 s2, s2, 0x10000
	s_delay_alu instid0(SALU_CYCLE_1)
	s_cmp_lt_u32 s2, s11
	s_cbranch_scc0 .LBB37_5
.LBB37_3:                               ; =>This Inner Loop Header: Depth=1
	s_mul_u64 s[8:9], s[12:13], s[2:3]
	s_delay_alu instid0(SALU_CYCLE_1)
	s_lshl_b64 s[8:9], s[8:9], 4
	s_wait_kmcnt 0x0
	s_add_nc_u64 s[6:7], s[6:7], s[8:9]
	s_and_saveexec_b32 s1, s0
	s_cbranch_execz .LBB37_2
; %bb.4:                                ;   in Loop: Header=BB37_3 Depth=1
	s_mul_u64 s[8:9], s[4:5], s[2:3]
	v_lshl_add_u64 v[8:9], v[0:1], 4, s[6:7]
	v_lshl_add_u64 v[4:5], s[8:9], 4, v[2:3]
	global_load_b128 v[4:7], v[4:5], off
	s_wait_loadcnt 0x0
	global_store_b128 v[8:9], v[4:7], off
	s_branch .LBB37_2
.LBB37_5:
	s_endpgm
	.section	.rodata,"a",@progbits
	.p2align	6, 0x0
	.amdhsa_kernel _ZL40rocblas_copy_triangular_syrk_herk_kernelILb1ELb0ELb1E19rocblas_complex_numIdEPS1_Li16ELi16EEviT3_ilPT2_i
		.amdhsa_group_segment_fixed_size 0
		.amdhsa_private_segment_fixed_size 0
		.amdhsa_kernarg_size 304
		.amdhsa_user_sgpr_count 2
		.amdhsa_user_sgpr_dispatch_ptr 0
		.amdhsa_user_sgpr_queue_ptr 0
		.amdhsa_user_sgpr_kernarg_segment_ptr 1
		.amdhsa_user_sgpr_dispatch_id 0
		.amdhsa_user_sgpr_kernarg_preload_length 0
		.amdhsa_user_sgpr_kernarg_preload_offset 0
		.amdhsa_user_sgpr_private_segment_size 0
		.amdhsa_wavefront_size32 1
		.amdhsa_uses_dynamic_stack 0
		.amdhsa_enable_private_segment 0
		.amdhsa_system_sgpr_workgroup_id_x 1
		.amdhsa_system_sgpr_workgroup_id_y 1
		.amdhsa_system_sgpr_workgroup_id_z 1
		.amdhsa_system_sgpr_workgroup_info 0
		.amdhsa_system_vgpr_workitem_id 1
		.amdhsa_next_free_vgpr 10
		.amdhsa_next_free_sgpr 21
		.amdhsa_named_barrier_count 0
		.amdhsa_reserve_vcc 1
		.amdhsa_float_round_mode_32 0
		.amdhsa_float_round_mode_16_64 0
		.amdhsa_float_denorm_mode_32 3
		.amdhsa_float_denorm_mode_16_64 3
		.amdhsa_fp16_overflow 0
		.amdhsa_memory_ordered 1
		.amdhsa_forward_progress 1
		.amdhsa_inst_pref_size 4
		.amdhsa_round_robin_scheduling 0
		.amdhsa_exception_fp_ieee_invalid_op 0
		.amdhsa_exception_fp_denorm_src 0
		.amdhsa_exception_fp_ieee_div_zero 0
		.amdhsa_exception_fp_ieee_overflow 0
		.amdhsa_exception_fp_ieee_underflow 0
		.amdhsa_exception_fp_ieee_inexact 0
		.amdhsa_exception_int_div_zero 0
	.end_amdhsa_kernel
	.section	.text._ZL40rocblas_copy_triangular_syrk_herk_kernelILb1ELb0ELb1E19rocblas_complex_numIdEPS1_Li16ELi16EEviT3_ilPT2_i,"axG",@progbits,_ZL40rocblas_copy_triangular_syrk_herk_kernelILb1ELb0ELb1E19rocblas_complex_numIdEPS1_Li16ELi16EEviT3_ilPT2_i,comdat
.Lfunc_end37:
	.size	_ZL40rocblas_copy_triangular_syrk_herk_kernelILb1ELb0ELb1E19rocblas_complex_numIdEPS1_Li16ELi16EEviT3_ilPT2_i, .Lfunc_end37-_ZL40rocblas_copy_triangular_syrk_herk_kernelILb1ELb0ELb1E19rocblas_complex_numIdEPS1_Li16ELi16EEviT3_ilPT2_i
                                        ; -- End function
	.set _ZL40rocblas_copy_triangular_syrk_herk_kernelILb1ELb0ELb1E19rocblas_complex_numIdEPS1_Li16ELi16EEviT3_ilPT2_i.num_vgpr, 10
	.set _ZL40rocblas_copy_triangular_syrk_herk_kernelILb1ELb0ELb1E19rocblas_complex_numIdEPS1_Li16ELi16EEviT3_ilPT2_i.num_agpr, 0
	.set _ZL40rocblas_copy_triangular_syrk_herk_kernelILb1ELb0ELb1E19rocblas_complex_numIdEPS1_Li16ELi16EEviT3_ilPT2_i.numbered_sgpr, 21
	.set _ZL40rocblas_copy_triangular_syrk_herk_kernelILb1ELb0ELb1E19rocblas_complex_numIdEPS1_Li16ELi16EEviT3_ilPT2_i.num_named_barrier, 0
	.set _ZL40rocblas_copy_triangular_syrk_herk_kernelILb1ELb0ELb1E19rocblas_complex_numIdEPS1_Li16ELi16EEviT3_ilPT2_i.private_seg_size, 0
	.set _ZL40rocblas_copy_triangular_syrk_herk_kernelILb1ELb0ELb1E19rocblas_complex_numIdEPS1_Li16ELi16EEviT3_ilPT2_i.uses_vcc, 1
	.set _ZL40rocblas_copy_triangular_syrk_herk_kernelILb1ELb0ELb1E19rocblas_complex_numIdEPS1_Li16ELi16EEviT3_ilPT2_i.uses_flat_scratch, 0
	.set _ZL40rocblas_copy_triangular_syrk_herk_kernelILb1ELb0ELb1E19rocblas_complex_numIdEPS1_Li16ELi16EEviT3_ilPT2_i.has_dyn_sized_stack, 0
	.set _ZL40rocblas_copy_triangular_syrk_herk_kernelILb1ELb0ELb1E19rocblas_complex_numIdEPS1_Li16ELi16EEviT3_ilPT2_i.has_recursion, 0
	.set _ZL40rocblas_copy_triangular_syrk_herk_kernelILb1ELb0ELb1E19rocblas_complex_numIdEPS1_Li16ELi16EEviT3_ilPT2_i.has_indirect_call, 0
	.section	.AMDGPU.csdata,"",@progbits
; Kernel info:
; codeLenInByte = 508
; TotalNumSgprs: 23
; NumVgprs: 10
; ScratchSize: 0
; MemoryBound: 0
; FloatMode: 240
; IeeeMode: 1
; LDSByteSize: 0 bytes/workgroup (compile time only)
; SGPRBlocks: 0
; VGPRBlocks: 0
; NumSGPRsForWavesPerEU: 23
; NumVGPRsForWavesPerEU: 10
; NamedBarCnt: 0
; Occupancy: 16
; WaveLimiterHint : 0
; COMPUTE_PGM_RSRC2:SCRATCH_EN: 0
; COMPUTE_PGM_RSRC2:USER_SGPR: 2
; COMPUTE_PGM_RSRC2:TRAP_HANDLER: 0
; COMPUTE_PGM_RSRC2:TGID_X_EN: 1
; COMPUTE_PGM_RSRC2:TGID_Y_EN: 1
; COMPUTE_PGM_RSRC2:TGID_Z_EN: 1
; COMPUTE_PGM_RSRC2:TIDIG_COMP_CNT: 1
	.section	.text._ZL40rocblas_copy_triangular_syrk_herk_kernelILb0ELb1ELb1E19rocblas_complex_numIdEPS1_Li16ELi16EEviT3_ilPT2_i,"axG",@progbits,_ZL40rocblas_copy_triangular_syrk_herk_kernelILb0ELb1ELb1E19rocblas_complex_numIdEPS1_Li16ELi16EEviT3_ilPT2_i,comdat
	.globl	_ZL40rocblas_copy_triangular_syrk_herk_kernelILb0ELb1ELb1E19rocblas_complex_numIdEPS1_Li16ELi16EEviT3_ilPT2_i ; -- Begin function _ZL40rocblas_copy_triangular_syrk_herk_kernelILb0ELb1ELb1E19rocblas_complex_numIdEPS1_Li16ELi16EEviT3_ilPT2_i
	.p2align	8
	.type	_ZL40rocblas_copy_triangular_syrk_herk_kernelILb0ELb1ELb1E19rocblas_complex_numIdEPS1_Li16ELi16EEviT3_ilPT2_i,@function
_ZL40rocblas_copy_triangular_syrk_herk_kernelILb0ELb1ELb1E19rocblas_complex_numIdEPS1_Li16ELi16EEviT3_ilPT2_i: ; @_ZL40rocblas_copy_triangular_syrk_herk_kernelILb0ELb1ELb1E19rocblas_complex_numIdEPS1_Li16ELi16EEviT3_ilPT2_i
; %bb.0:
	s_load_b32 s3, s[0:1], 0x28
	s_bfe_u32 s2, ttmp6, 0x40014
	s_lshr_b32 s4, ttmp7, 16
	s_add_co_i32 s2, s2, 1
	s_bfe_u32 s6, ttmp6, 0x40008
	s_mul_i32 s5, s4, s2
	s_getreg_b32 s2, hwreg(HW_REG_IB_STS2, 6, 4)
	s_add_co_i32 s6, s6, s5
	s_cmp_eq_u32 s2, 0
	s_mov_b32 s13, 0
	s_cselect_b32 s12, s4, s6
	s_wait_kmcnt 0x0
	s_cmp_ge_u32 s12, s3
	s_cbranch_scc1 .LBB38_7
; %bb.1:
	s_clause 0x2
	s_load_b32 s16, s[0:1], 0x0
	s_load_b96 s[8:10], s[0:1], 0x8
	s_load_b32 s11, s[0:1], 0x3c
	s_bfe_u32 s4, ttmp6, 0x40010
	s_and_b32 s18, ttmp7, 0xffff
	s_add_co_i32 s4, s4, 1
	s_bfe_u32 s6, ttmp6, 0x40004
	s_bfe_u32 s7, ttmp6, 0x4000c
	s_mul_i32 s4, s18, s4
	s_add_co_i32 s7, s7, 1
	s_add_co_i32 s20, s6, s4
	s_mul_i32 s15, ttmp9, s7
	s_mov_b32 s5, s13
	s_and_b32 s14, ttmp6, 15
	v_bfe_u32 v1, v0, 10, 10
	s_add_co_i32 s21, s14, s15
	v_and_b32_e32 v2, 0x3ff, v0
	s_wait_kmcnt 0x0
	s_add_co_i32 s6, s16, -1
	s_ashr_i32 s17, s16, 31
	s_ashr_i32 s7, s6, 31
	s_ashr_i32 s19, s10, 31
	s_mul_u64 s[6:7], s[6:7], s[16:17]
	s_lshr_b32 s17, s11, 16
	s_lshr_b32 s4, s7, 31
	s_delay_alu instid0(SALU_CYCLE_1)
	s_add_nc_u64 s[4:5], s[6:7], s[4:5]
	s_and_b32 s6, s11, 0xffff
	s_ashr_i64 s[14:15], s[4:5], 1
	s_cmp_eq_u32 s2, 0
	s_cselect_b32 s2, s18, s20
	s_mov_b32 s18, s10
	v_mad_u32 v0, s2, s17, v1
	s_cselect_b32 s2, ttmp9, s21
	s_delay_alu instid0(SALU_CYCLE_1) | instskip(SKIP_1) | instid1(VALU_DEP_2)
	v_mad_u32 v8, s2, s6, v2
	s_load_b128 s[4:7], s[0:1], 0x18
	v_add_nc_u32_e32 v1, -1, v0
	v_cmp_gt_i32_e32 vcc_lo, s16, v0
	s_wait_xcnt 0x0
	s_delay_alu instid0(VALU_DEP_3)
	v_cmp_gt_i32_e64 s0, s16, v8
	v_cmp_gt_i32_e64 s1, v0, v8
	v_mul_lo_u32 v1, v1, v0
	v_ashrrev_i32_e32 v9, 31, v8
	v_cmp_eq_u32_e64 s2, v0, v8
	s_and_b32 s0, s0, vcc_lo
	s_and_b32 s2, vcc_lo, s2
	v_lshrrev_b32_e32 v4, 31, v1
	v_mul_u64_e32 v[2:3], s[18:19], v[8:9]
	s_delay_alu instid0(VALU_DEP_2) | instskip(SKIP_1) | instid1(VALU_DEP_2)
	v_add_nc_u32_e32 v4, v1, v4
	v_ashrrev_i32_e32 v1, 31, v0
	v_ashrrev_i32_e32 v6, 1, v4
	s_delay_alu instid0(VALU_DEP_2) | instskip(SKIP_1) | instid1(VALU_DEP_2)
	v_mad_nc_i64_i32 v[4:5], v0, s10, v[0:1]
	s_and_b32 s10, s0, s1
	v_add_nc_u32_e32 v6, v6, v8
	v_mov_b64_e32 v[8:9], 0
	s_delay_alu instid0(VALU_DEP_2)
	v_ashrrev_i32_e32 v7, 31, v6
	s_branch .LBB38_3
.LBB38_2:                               ;   in Loop: Header=BB38_3 Depth=1
	s_wait_xcnt 0x0
	s_or_b32 exec_lo, exec_lo, s11
	s_add_co_i32 s12, s12, 0x10000
	s_delay_alu instid0(SALU_CYCLE_1)
	s_cmp_lt_u32 s12, s3
	s_cbranch_scc0 .LBB38_7
.LBB38_3:                               ; =>This Inner Loop Header: Depth=1
	s_wait_kmcnt 0x0
	s_mul_u64 s[0:1], s[4:5], s[12:13]
	s_mul_u64 s[16:17], s[14:15], s[12:13]
	s_lshl_b64 s[0:1], s[0:1], 4
	s_lshl_b64 s[16:17], s[16:17], 4
	s_add_nc_u64 s[0:1], s[8:9], s[0:1]
	s_add_nc_u64 s[6:7], s[6:7], s[16:17]
	s_and_saveexec_b32 s11, s10
	s_cbranch_execnz .LBB38_5
; %bb.4:                                ;   in Loop: Header=BB38_3 Depth=1
	s_or_b32 exec_lo, exec_lo, s11
	s_and_saveexec_b32 s11, s2
	s_cbranch_execz .LBB38_2
	s_branch .LBB38_6
.LBB38_5:                               ;   in Loop: Header=BB38_3 Depth=1
	v_lshl_add_u64 v[10:11], v[6:7], 4, s[6:7]
	v_lshl_add_u64 v[14:15], v[2:3], 4, s[0:1]
	global_load_b128 v[10:13], v[10:11], off
	v_lshl_add_u64 v[14:15], v[0:1], 4, v[14:15]
	s_wait_loadcnt 0x0
	global_store_b128 v[14:15], v[10:13], off
	s_wait_xcnt 0x0
	s_or_b32 exec_lo, exec_lo, s11
	s_and_saveexec_b32 s11, s2
	s_cbranch_execz .LBB38_2
.LBB38_6:                               ;   in Loop: Header=BB38_3 Depth=1
	v_lshl_add_u64 v[10:11], v[4:5], 4, s[0:1]
	global_store_b64 v[10:11], v[8:9], off offset:8
	s_branch .LBB38_2
.LBB38_7:
	s_endpgm
	.section	.rodata,"a",@progbits
	.p2align	6, 0x0
	.amdhsa_kernel _ZL40rocblas_copy_triangular_syrk_herk_kernelILb0ELb1ELb1E19rocblas_complex_numIdEPS1_Li16ELi16EEviT3_ilPT2_i
		.amdhsa_group_segment_fixed_size 0
		.amdhsa_private_segment_fixed_size 0
		.amdhsa_kernarg_size 304
		.amdhsa_user_sgpr_count 2
		.amdhsa_user_sgpr_dispatch_ptr 0
		.amdhsa_user_sgpr_queue_ptr 0
		.amdhsa_user_sgpr_kernarg_segment_ptr 1
		.amdhsa_user_sgpr_dispatch_id 0
		.amdhsa_user_sgpr_kernarg_preload_length 0
		.amdhsa_user_sgpr_kernarg_preload_offset 0
		.amdhsa_user_sgpr_private_segment_size 0
		.amdhsa_wavefront_size32 1
		.amdhsa_uses_dynamic_stack 0
		.amdhsa_enable_private_segment 0
		.amdhsa_system_sgpr_workgroup_id_x 1
		.amdhsa_system_sgpr_workgroup_id_y 1
		.amdhsa_system_sgpr_workgroup_id_z 1
		.amdhsa_system_sgpr_workgroup_info 0
		.amdhsa_system_vgpr_workitem_id 1
		.amdhsa_next_free_vgpr 16
		.amdhsa_next_free_sgpr 22
		.amdhsa_named_barrier_count 0
		.amdhsa_reserve_vcc 1
		.amdhsa_float_round_mode_32 0
		.amdhsa_float_round_mode_16_64 0
		.amdhsa_float_denorm_mode_32 3
		.amdhsa_float_denorm_mode_16_64 3
		.amdhsa_fp16_overflow 0
		.amdhsa_memory_ordered 1
		.amdhsa_forward_progress 1
		.amdhsa_inst_pref_size 5
		.amdhsa_round_robin_scheduling 0
		.amdhsa_exception_fp_ieee_invalid_op 0
		.amdhsa_exception_fp_denorm_src 0
		.amdhsa_exception_fp_ieee_div_zero 0
		.amdhsa_exception_fp_ieee_overflow 0
		.amdhsa_exception_fp_ieee_underflow 0
		.amdhsa_exception_fp_ieee_inexact 0
		.amdhsa_exception_int_div_zero 0
	.end_amdhsa_kernel
	.section	.text._ZL40rocblas_copy_triangular_syrk_herk_kernelILb0ELb1ELb1E19rocblas_complex_numIdEPS1_Li16ELi16EEviT3_ilPT2_i,"axG",@progbits,_ZL40rocblas_copy_triangular_syrk_herk_kernelILb0ELb1ELb1E19rocblas_complex_numIdEPS1_Li16ELi16EEviT3_ilPT2_i,comdat
.Lfunc_end38:
	.size	_ZL40rocblas_copy_triangular_syrk_herk_kernelILb0ELb1ELb1E19rocblas_complex_numIdEPS1_Li16ELi16EEviT3_ilPT2_i, .Lfunc_end38-_ZL40rocblas_copy_triangular_syrk_herk_kernelILb0ELb1ELb1E19rocblas_complex_numIdEPS1_Li16ELi16EEviT3_ilPT2_i
                                        ; -- End function
	.set _ZL40rocblas_copy_triangular_syrk_herk_kernelILb0ELb1ELb1E19rocblas_complex_numIdEPS1_Li16ELi16EEviT3_ilPT2_i.num_vgpr, 16
	.set _ZL40rocblas_copy_triangular_syrk_herk_kernelILb0ELb1ELb1E19rocblas_complex_numIdEPS1_Li16ELi16EEviT3_ilPT2_i.num_agpr, 0
	.set _ZL40rocblas_copy_triangular_syrk_herk_kernelILb0ELb1ELb1E19rocblas_complex_numIdEPS1_Li16ELi16EEviT3_ilPT2_i.numbered_sgpr, 22
	.set _ZL40rocblas_copy_triangular_syrk_herk_kernelILb0ELb1ELb1E19rocblas_complex_numIdEPS1_Li16ELi16EEviT3_ilPT2_i.num_named_barrier, 0
	.set _ZL40rocblas_copy_triangular_syrk_herk_kernelILb0ELb1ELb1E19rocblas_complex_numIdEPS1_Li16ELi16EEviT3_ilPT2_i.private_seg_size, 0
	.set _ZL40rocblas_copy_triangular_syrk_herk_kernelILb0ELb1ELb1E19rocblas_complex_numIdEPS1_Li16ELi16EEviT3_ilPT2_i.uses_vcc, 1
	.set _ZL40rocblas_copy_triangular_syrk_herk_kernelILb0ELb1ELb1E19rocblas_complex_numIdEPS1_Li16ELi16EEviT3_ilPT2_i.uses_flat_scratch, 0
	.set _ZL40rocblas_copy_triangular_syrk_herk_kernelILb0ELb1ELb1E19rocblas_complex_numIdEPS1_Li16ELi16EEviT3_ilPT2_i.has_dyn_sized_stack, 0
	.set _ZL40rocblas_copy_triangular_syrk_herk_kernelILb0ELb1ELb1E19rocblas_complex_numIdEPS1_Li16ELi16EEviT3_ilPT2_i.has_recursion, 0
	.set _ZL40rocblas_copy_triangular_syrk_herk_kernelILb0ELb1ELb1E19rocblas_complex_numIdEPS1_Li16ELi16EEviT3_ilPT2_i.has_indirect_call, 0
	.section	.AMDGPU.csdata,"",@progbits
; Kernel info:
; codeLenInByte = 568
; TotalNumSgprs: 24
; NumVgprs: 16
; ScratchSize: 0
; MemoryBound: 0
; FloatMode: 240
; IeeeMode: 1
; LDSByteSize: 0 bytes/workgroup (compile time only)
; SGPRBlocks: 0
; VGPRBlocks: 0
; NumSGPRsForWavesPerEU: 24
; NumVGPRsForWavesPerEU: 16
; NamedBarCnt: 0
; Occupancy: 16
; WaveLimiterHint : 0
; COMPUTE_PGM_RSRC2:SCRATCH_EN: 0
; COMPUTE_PGM_RSRC2:USER_SGPR: 2
; COMPUTE_PGM_RSRC2:TRAP_HANDLER: 0
; COMPUTE_PGM_RSRC2:TGID_X_EN: 1
; COMPUTE_PGM_RSRC2:TGID_Y_EN: 1
; COMPUTE_PGM_RSRC2:TGID_Z_EN: 1
; COMPUTE_PGM_RSRC2:TIDIG_COMP_CNT: 1
	.section	.text._ZL40rocblas_copy_triangular_syrk_herk_kernelILb0ELb0ELb1E19rocblas_complex_numIdEPS1_Li16ELi16EEviT3_ilPT2_i,"axG",@progbits,_ZL40rocblas_copy_triangular_syrk_herk_kernelILb0ELb0ELb1E19rocblas_complex_numIdEPS1_Li16ELi16EEviT3_ilPT2_i,comdat
	.globl	_ZL40rocblas_copy_triangular_syrk_herk_kernelILb0ELb0ELb1E19rocblas_complex_numIdEPS1_Li16ELi16EEviT3_ilPT2_i ; -- Begin function _ZL40rocblas_copy_triangular_syrk_herk_kernelILb0ELb0ELb1E19rocblas_complex_numIdEPS1_Li16ELi16EEviT3_ilPT2_i
	.p2align	8
	.type	_ZL40rocblas_copy_triangular_syrk_herk_kernelILb0ELb0ELb1E19rocblas_complex_numIdEPS1_Li16ELi16EEviT3_ilPT2_i,@function
_ZL40rocblas_copy_triangular_syrk_herk_kernelILb0ELb0ELb1E19rocblas_complex_numIdEPS1_Li16ELi16EEviT3_ilPT2_i: ; @_ZL40rocblas_copy_triangular_syrk_herk_kernelILb0ELb0ELb1E19rocblas_complex_numIdEPS1_Li16ELi16EEviT3_ilPT2_i
; %bb.0:
	s_load_b32 s3, s[0:1], 0x28
	s_bfe_u32 s2, ttmp6, 0x40014
	s_lshr_b32 s4, ttmp7, 16
	s_add_co_i32 s2, s2, 1
	s_bfe_u32 s6, ttmp6, 0x40008
	s_mul_i32 s5, s4, s2
	s_getreg_b32 s2, hwreg(HW_REG_IB_STS2, 6, 4)
	s_add_co_i32 s6, s6, s5
	s_cmp_eq_u32 s2, 0
	s_mov_b32 s13, 0
	s_cselect_b32 s12, s4, s6
	s_wait_kmcnt 0x0
	s_cmp_ge_u32 s12, s3
	s_cbranch_scc1 .LBB39_7
; %bb.1:
	s_clause 0x2
	s_load_b32 s16, s[0:1], 0x0
	s_load_b96 s[8:10], s[0:1], 0x8
	s_load_b32 s11, s[0:1], 0x3c
	s_bfe_u32 s4, ttmp6, 0x40010
	s_and_b32 s18, ttmp7, 0xffff
	s_add_co_i32 s4, s4, 1
	s_bfe_u32 s6, ttmp6, 0x40004
	s_bfe_u32 s7, ttmp6, 0x4000c
	s_mul_i32 s4, s18, s4
	s_add_co_i32 s7, s7, 1
	s_add_co_i32 s20, s6, s4
	s_mul_i32 s15, ttmp9, s7
	s_mov_b32 s5, s13
	s_and_b32 s14, ttmp6, 15
	v_bfe_u32 v1, v0, 10, 10
	s_add_co_i32 s21, s14, s15
	v_and_b32_e32 v0, 0x3ff, v0
	s_wait_kmcnt 0x0
	s_add_co_i32 s6, s16, -1
	s_ashr_i32 s17, s16, 31
	s_ashr_i32 s7, s6, 31
	;; [unrolled: 1-line block ×3, first 2 shown]
	s_mul_u64 s[6:7], s[6:7], s[16:17]
	s_lshr_b32 s17, s11, 16
	s_lshr_b32 s4, s7, 31
	s_delay_alu instid0(SALU_CYCLE_1)
	s_add_nc_u64 s[4:5], s[6:7], s[4:5]
	s_and_b32 s6, s11, 0xffff
	s_ashr_i64 s[14:15], s[4:5], 1
	s_cmp_eq_u32 s2, 0
	s_cselect_b32 s2, s18, s20
	s_mov_b32 s18, s10
	v_mad_u32 v2, s2, s17, v1
	s_cselect_b32 s2, ttmp9, s21
	s_delay_alu instid0(SALU_CYCLE_1) | instskip(SKIP_1) | instid1(VALU_DEP_2)
	v_mad_u32 v8, s2, s6, v0
	s_load_b128 s[4:7], s[0:1], 0x18
	v_not_b32_e32 v6, v2
	v_cmp_gt_i32_e32 vcc_lo, s16, v2
	s_wait_xcnt 0x0
	s_delay_alu instid0(VALU_DEP_3) | instskip(SKIP_3) | instid1(VALU_DEP_2)
	v_cmp_gt_i32_e64 s0, s16, v8
	v_cmp_lt_i32_e64 s1, v2, v8
	v_lshl_add_u32 v0, s16, 1, v6
	v_cmp_eq_u32_e64 s2, v2, v8
	v_mul_lo_u32 v3, v0, v2
	v_ashrrev_i32_e32 v9, 31, v8
	s_and_b32 s2, vcc_lo, s2
	s_delay_alu instid0(VALU_DEP_2) | instskip(NEXT) | instid1(VALU_DEP_2)
	v_lshrrev_b32_e32 v4, 31, v3
	v_mul_u64_e32 v[0:1], s[18:19], v[8:9]
	s_delay_alu instid0(VALU_DEP_2) | instskip(NEXT) | instid1(VALU_DEP_1)
	v_dual_add_nc_u32 v4, v3, v4 :: v_dual_ashrrev_i32 v3, 31, v2
	v_ashrrev_i32_e32 v7, 1, v4
	s_delay_alu instid0(VALU_DEP_2) | instskip(SKIP_1) | instid1(VALU_DEP_2)
	v_mad_nc_i64_i32 v[4:5], v2, s10, v[2:3]
	s_and_b32 s10, s0, s1
	v_add3_u32 v6, v8, v6, v7
	v_mov_b64_e32 v[8:9], 0
	s_delay_alu instid0(VALU_DEP_2)
	v_ashrrev_i32_e32 v7, 31, v6
	s_branch .LBB39_3
.LBB39_2:                               ;   in Loop: Header=BB39_3 Depth=1
	s_wait_xcnt 0x0
	s_or_b32 exec_lo, exec_lo, s11
	s_add_co_i32 s12, s12, 0x10000
	s_delay_alu instid0(SALU_CYCLE_1)
	s_cmp_lt_u32 s12, s3
	s_cbranch_scc0 .LBB39_7
.LBB39_3:                               ; =>This Inner Loop Header: Depth=1
	s_wait_kmcnt 0x0
	s_mul_u64 s[0:1], s[4:5], s[12:13]
	s_mul_u64 s[16:17], s[14:15], s[12:13]
	s_lshl_b64 s[0:1], s[0:1], 4
	s_lshl_b64 s[16:17], s[16:17], 4
	s_add_nc_u64 s[0:1], s[8:9], s[0:1]
	s_add_nc_u64 s[6:7], s[6:7], s[16:17]
	s_and_saveexec_b32 s11, s10
	s_cbranch_execnz .LBB39_5
; %bb.4:                                ;   in Loop: Header=BB39_3 Depth=1
	s_or_b32 exec_lo, exec_lo, s11
	s_and_saveexec_b32 s11, s2
	s_cbranch_execz .LBB39_2
	s_branch .LBB39_6
.LBB39_5:                               ;   in Loop: Header=BB39_3 Depth=1
	v_lshl_add_u64 v[10:11], v[6:7], 4, s[6:7]
	v_lshl_add_u64 v[14:15], v[0:1], 4, s[0:1]
	global_load_b128 v[10:13], v[10:11], off
	v_lshl_add_u64 v[14:15], v[2:3], 4, v[14:15]
	s_wait_loadcnt 0x0
	global_store_b128 v[14:15], v[10:13], off
	s_wait_xcnt 0x0
	s_or_b32 exec_lo, exec_lo, s11
	s_and_saveexec_b32 s11, s2
	s_cbranch_execz .LBB39_2
.LBB39_6:                               ;   in Loop: Header=BB39_3 Depth=1
	v_lshl_add_u64 v[10:11], v[4:5], 4, s[0:1]
	global_store_b64 v[10:11], v[8:9], off offset:8
	s_branch .LBB39_2
.LBB39_7:
	s_endpgm
	.section	.rodata,"a",@progbits
	.p2align	6, 0x0
	.amdhsa_kernel _ZL40rocblas_copy_triangular_syrk_herk_kernelILb0ELb0ELb1E19rocblas_complex_numIdEPS1_Li16ELi16EEviT3_ilPT2_i
		.amdhsa_group_segment_fixed_size 0
		.amdhsa_private_segment_fixed_size 0
		.amdhsa_kernarg_size 304
		.amdhsa_user_sgpr_count 2
		.amdhsa_user_sgpr_dispatch_ptr 0
		.amdhsa_user_sgpr_queue_ptr 0
		.amdhsa_user_sgpr_kernarg_segment_ptr 1
		.amdhsa_user_sgpr_dispatch_id 0
		.amdhsa_user_sgpr_kernarg_preload_length 0
		.amdhsa_user_sgpr_kernarg_preload_offset 0
		.amdhsa_user_sgpr_private_segment_size 0
		.amdhsa_wavefront_size32 1
		.amdhsa_uses_dynamic_stack 0
		.amdhsa_enable_private_segment 0
		.amdhsa_system_sgpr_workgroup_id_x 1
		.amdhsa_system_sgpr_workgroup_id_y 1
		.amdhsa_system_sgpr_workgroup_id_z 1
		.amdhsa_system_sgpr_workgroup_info 0
		.amdhsa_system_vgpr_workitem_id 1
		.amdhsa_next_free_vgpr 16
		.amdhsa_next_free_sgpr 22
		.amdhsa_named_barrier_count 0
		.amdhsa_reserve_vcc 1
		.amdhsa_float_round_mode_32 0
		.amdhsa_float_round_mode_16_64 0
		.amdhsa_float_denorm_mode_32 3
		.amdhsa_float_denorm_mode_16_64 3
		.amdhsa_fp16_overflow 0
		.amdhsa_memory_ordered 1
		.amdhsa_forward_progress 1
		.amdhsa_inst_pref_size 5
		.amdhsa_round_robin_scheduling 0
		.amdhsa_exception_fp_ieee_invalid_op 0
		.amdhsa_exception_fp_denorm_src 0
		.amdhsa_exception_fp_ieee_div_zero 0
		.amdhsa_exception_fp_ieee_overflow 0
		.amdhsa_exception_fp_ieee_underflow 0
		.amdhsa_exception_fp_ieee_inexact 0
		.amdhsa_exception_int_div_zero 0
	.end_amdhsa_kernel
	.section	.text._ZL40rocblas_copy_triangular_syrk_herk_kernelILb0ELb0ELb1E19rocblas_complex_numIdEPS1_Li16ELi16EEviT3_ilPT2_i,"axG",@progbits,_ZL40rocblas_copy_triangular_syrk_herk_kernelILb0ELb0ELb1E19rocblas_complex_numIdEPS1_Li16ELi16EEviT3_ilPT2_i,comdat
.Lfunc_end39:
	.size	_ZL40rocblas_copy_triangular_syrk_herk_kernelILb0ELb0ELb1E19rocblas_complex_numIdEPS1_Li16ELi16EEviT3_ilPT2_i, .Lfunc_end39-_ZL40rocblas_copy_triangular_syrk_herk_kernelILb0ELb0ELb1E19rocblas_complex_numIdEPS1_Li16ELi16EEviT3_ilPT2_i
                                        ; -- End function
	.set _ZL40rocblas_copy_triangular_syrk_herk_kernelILb0ELb0ELb1E19rocblas_complex_numIdEPS1_Li16ELi16EEviT3_ilPT2_i.num_vgpr, 16
	.set _ZL40rocblas_copy_triangular_syrk_herk_kernelILb0ELb0ELb1E19rocblas_complex_numIdEPS1_Li16ELi16EEviT3_ilPT2_i.num_agpr, 0
	.set _ZL40rocblas_copy_triangular_syrk_herk_kernelILb0ELb0ELb1E19rocblas_complex_numIdEPS1_Li16ELi16EEviT3_ilPT2_i.numbered_sgpr, 22
	.set _ZL40rocblas_copy_triangular_syrk_herk_kernelILb0ELb0ELb1E19rocblas_complex_numIdEPS1_Li16ELi16EEviT3_ilPT2_i.num_named_barrier, 0
	.set _ZL40rocblas_copy_triangular_syrk_herk_kernelILb0ELb0ELb1E19rocblas_complex_numIdEPS1_Li16ELi16EEviT3_ilPT2_i.private_seg_size, 0
	.set _ZL40rocblas_copy_triangular_syrk_herk_kernelILb0ELb0ELb1E19rocblas_complex_numIdEPS1_Li16ELi16EEviT3_ilPT2_i.uses_vcc, 1
	.set _ZL40rocblas_copy_triangular_syrk_herk_kernelILb0ELb0ELb1E19rocblas_complex_numIdEPS1_Li16ELi16EEviT3_ilPT2_i.uses_flat_scratch, 0
	.set _ZL40rocblas_copy_triangular_syrk_herk_kernelILb0ELb0ELb1E19rocblas_complex_numIdEPS1_Li16ELi16EEviT3_ilPT2_i.has_dyn_sized_stack, 0
	.set _ZL40rocblas_copy_triangular_syrk_herk_kernelILb0ELb0ELb1E19rocblas_complex_numIdEPS1_Li16ELi16EEviT3_ilPT2_i.has_recursion, 0
	.set _ZL40rocblas_copy_triangular_syrk_herk_kernelILb0ELb0ELb1E19rocblas_complex_numIdEPS1_Li16ELi16EEviT3_ilPT2_i.has_indirect_call, 0
	.section	.AMDGPU.csdata,"",@progbits
; Kernel info:
; codeLenInByte = 584
; TotalNumSgprs: 24
; NumVgprs: 16
; ScratchSize: 0
; MemoryBound: 0
; FloatMode: 240
; IeeeMode: 1
; LDSByteSize: 0 bytes/workgroup (compile time only)
; SGPRBlocks: 0
; VGPRBlocks: 0
; NumSGPRsForWavesPerEU: 24
; NumVGPRsForWavesPerEU: 16
; NamedBarCnt: 0
; Occupancy: 16
; WaveLimiterHint : 0
; COMPUTE_PGM_RSRC2:SCRATCH_EN: 0
; COMPUTE_PGM_RSRC2:USER_SGPR: 2
; COMPUTE_PGM_RSRC2:TRAP_HANDLER: 0
; COMPUTE_PGM_RSRC2:TGID_X_EN: 1
; COMPUTE_PGM_RSRC2:TGID_Y_EN: 1
; COMPUTE_PGM_RSRC2:TGID_Z_EN: 1
; COMPUTE_PGM_RSRC2:TIDIG_COMP_CNT: 1
	.section	.text._ZL40rocblas_copy_triangular_syrk_herk_kernelILb1ELb1ELb1E19rocblas_complex_numIfEPKPS1_Li16ELi16EEviT3_ilPT2_i,"axG",@progbits,_ZL40rocblas_copy_triangular_syrk_herk_kernelILb1ELb1ELb1E19rocblas_complex_numIfEPKPS1_Li16ELi16EEviT3_ilPT2_i,comdat
	.globl	_ZL40rocblas_copy_triangular_syrk_herk_kernelILb1ELb1ELb1E19rocblas_complex_numIfEPKPS1_Li16ELi16EEviT3_ilPT2_i ; -- Begin function _ZL40rocblas_copy_triangular_syrk_herk_kernelILb1ELb1ELb1E19rocblas_complex_numIfEPKPS1_Li16ELi16EEviT3_ilPT2_i
	.p2align	8
	.type	_ZL40rocblas_copy_triangular_syrk_herk_kernelILb1ELb1ELb1E19rocblas_complex_numIfEPKPS1_Li16ELi16EEviT3_ilPT2_i,@function
_ZL40rocblas_copy_triangular_syrk_herk_kernelILb1ELb1ELb1E19rocblas_complex_numIfEPKPS1_Li16ELi16EEviT3_ilPT2_i: ; @_ZL40rocblas_copy_triangular_syrk_herk_kernelILb1ELb1ELb1E19rocblas_complex_numIfEPKPS1_Li16ELi16EEviT3_ilPT2_i
; %bb.0:
	s_load_b32 s7, s[0:1], 0x28
	s_bfe_u32 s2, ttmp6, 0x40014
	s_lshr_b32 s3, ttmp7, 16
	s_add_co_i32 s2, s2, 1
	s_bfe_u32 s4, ttmp6, 0x40008
	s_mul_i32 s2, s3, s2
	s_getreg_b32 s12, hwreg(HW_REG_IB_STS2, 6, 4)
	s_add_co_i32 s4, s4, s2
	s_cmp_eq_u32 s12, 0
	s_cselect_b32 s2, s3, s4
	s_mov_b32 s3, 0
	s_wait_kmcnt 0x0
	s_cmp_ge_u32 s2, s7
	s_cbranch_scc1 .LBB40_5
; %bb.1:
	s_clause 0x3
	s_load_b32 s14, s[0:1], 0x0
	s_load_b96 s[4:6], s[0:1], 0x8
	s_load_b64 s[8:9], s[0:1], 0x20
	s_load_b32 s16, s[0:1], 0x3c
	s_wait_xcnt 0x0
	s_bfe_u32 s0, ttmp6, 0x40010
	s_and_b32 s17, ttmp7, 0xffff
	s_add_co_i32 s0, s0, 1
	s_bfe_u32 s10, ttmp6, 0x40004
	s_bfe_u32 s11, ttmp6, 0x4000c
	s_mul_i32 s0, s17, s0
	s_add_co_i32 s11, s11, 1
	s_add_co_i32 s19, s10, s0
	s_mul_i32 s18, ttmp9, s11
	s_mov_b32 s1, s3
	s_and_b32 s13, ttmp6, 15
	v_bfe_u32 v1, v0, 10, 10
	s_add_co_i32 s18, s13, s18
	v_and_b32_e32 v2, 0x3ff, v0
	s_wait_kmcnt 0x0
	s_add_co_i32 s10, s14, -1
	s_ashr_i32 s15, s14, 31
	s_ashr_i32 s11, s10, 31
	;; [unrolled: 1-line block ×3, first 2 shown]
	s_mul_u64 s[10:11], s[10:11], s[14:15]
	s_lshr_b32 s15, s16, 16
	s_lshr_b32 s0, s11, 31
	s_and_b32 s16, s16, 0xffff
	s_add_nc_u64 s[0:1], s[10:11], s[0:1]
	s_delay_alu instid0(SALU_CYCLE_1) | instskip(SKIP_3) | instid1(SALU_CYCLE_1)
	s_ashr_i64 s[10:11], s[0:1], 1
	s_cmp_eq_u32 s12, 0
	s_mov_b32 s12, s6
	s_cselect_b32 s0, s17, s19
	v_mad_u32 v0, s0, s15, v1
	s_cselect_b32 s0, ttmp9, s18
	s_delay_alu instid0(SALU_CYCLE_1) | instskip(NEXT) | instid1(VALU_DEP_1)
	v_mad_u32 v6, s0, s16, v2
	v_dual_add_nc_u32 v1, -1, v0 :: v_dual_ashrrev_i32 v7, 31, v6
	v_cmp_gt_i32_e32 vcc_lo, v0, v6
	s_delay_alu instid0(VALU_DEP_2) | instskip(SKIP_1) | instid1(VALU_DEP_4)
	v_mul_lo_u32 v1, v1, v0
	v_max_i32_e32 v5, v0, v6
	v_mul_u64_e32 v[2:3], s[12:13], v[6:7]
	s_delay_alu instid0(VALU_DEP_2) | instskip(NEXT) | instid1(VALU_DEP_4)
	v_cmp_gt_i32_e64 s0, s14, v5
	v_lshrrev_b32_e32 v4, 31, v1
	s_and_b32 s0, vcc_lo, s0
	s_delay_alu instid0(VALU_DEP_1) | instskip(NEXT) | instid1(VALU_DEP_1)
	v_add_nc_u32_e32 v1, v1, v4
	v_ashrrev_i32_e32 v1, 1, v1
	s_delay_alu instid0(VALU_DEP_1) | instskip(NEXT) | instid1(VALU_DEP_1)
	v_dual_add_nc_u32 v4, v1, v6 :: v_dual_ashrrev_i32 v1, 31, v0
	v_dual_mov_b32 v6, 0 :: v_dual_ashrrev_i32 v5, 31, v4
	s_branch .LBB40_3
.LBB40_2:                               ;   in Loop: Header=BB40_3 Depth=1
	s_wait_xcnt 0x0
	s_or_b32 exec_lo, exec_lo, s1
	s_add_co_i32 s2, s2, 0x10000
	s_delay_alu instid0(SALU_CYCLE_1)
	s_cmp_lt_u32 s2, s7
	s_cbranch_scc0 .LBB40_5
.LBB40_3:                               ; =>This Inner Loop Header: Depth=1
	s_mul_u64 s[12:13], s[10:11], s[2:3]
	s_delay_alu instid0(SALU_CYCLE_1) | instskip(NEXT) | instid1(SALU_CYCLE_1)
	s_lshl_b64 s[12:13], s[12:13], 3
	s_add_nc_u64 s[8:9], s[8:9], s[12:13]
	s_and_saveexec_b32 s1, s0
	s_cbranch_execz .LBB40_2
; %bb.4:                                ;   in Loop: Header=BB40_3 Depth=1
	s_lshl_b64 s[12:13], s[2:3], 3
	v_lshl_add_u64 v[10:11], v[4:5], 3, s[8:9]
	s_add_nc_u64 s[12:13], s[4:5], s[12:13]
	global_load_b64 v[8:9], v6, s[12:13]
	s_wait_loadcnt 0x0
	v_lshl_add_u64 v[8:9], v[2:3], 3, v[8:9]
	s_delay_alu instid0(VALU_DEP_1)
	v_lshl_add_u64 v[8:9], v[0:1], 3, v[8:9]
	flat_load_b64 v[8:9], v[8:9]
	s_wait_loadcnt_dscnt 0x0
	global_store_b64 v[10:11], v[8:9], off
	s_branch .LBB40_2
.LBB40_5:
	s_endpgm
	.section	.rodata,"a",@progbits
	.p2align	6, 0x0
	.amdhsa_kernel _ZL40rocblas_copy_triangular_syrk_herk_kernelILb1ELb1ELb1E19rocblas_complex_numIfEPKPS1_Li16ELi16EEviT3_ilPT2_i
		.amdhsa_group_segment_fixed_size 0
		.amdhsa_private_segment_fixed_size 0
		.amdhsa_kernarg_size 304
		.amdhsa_user_sgpr_count 2
		.amdhsa_user_sgpr_dispatch_ptr 0
		.amdhsa_user_sgpr_queue_ptr 0
		.amdhsa_user_sgpr_kernarg_segment_ptr 1
		.amdhsa_user_sgpr_dispatch_id 0
		.amdhsa_user_sgpr_kernarg_preload_length 0
		.amdhsa_user_sgpr_kernarg_preload_offset 0
		.amdhsa_user_sgpr_private_segment_size 0
		.amdhsa_wavefront_size32 1
		.amdhsa_uses_dynamic_stack 0
		.amdhsa_enable_private_segment 0
		.amdhsa_system_sgpr_workgroup_id_x 1
		.amdhsa_system_sgpr_workgroup_id_y 1
		.amdhsa_system_sgpr_workgroup_id_z 1
		.amdhsa_system_sgpr_workgroup_info 0
		.amdhsa_system_vgpr_workitem_id 1
		.amdhsa_next_free_vgpr 12
		.amdhsa_next_free_sgpr 20
		.amdhsa_named_barrier_count 0
		.amdhsa_reserve_vcc 1
		.amdhsa_float_round_mode_32 0
		.amdhsa_float_round_mode_16_64 0
		.amdhsa_float_denorm_mode_32 3
		.amdhsa_float_denorm_mode_16_64 3
		.amdhsa_fp16_overflow 0
		.amdhsa_memory_ordered 1
		.amdhsa_forward_progress 1
		.amdhsa_inst_pref_size 4
		.amdhsa_round_robin_scheduling 0
		.amdhsa_exception_fp_ieee_invalid_op 0
		.amdhsa_exception_fp_denorm_src 0
		.amdhsa_exception_fp_ieee_div_zero 0
		.amdhsa_exception_fp_ieee_overflow 0
		.amdhsa_exception_fp_ieee_underflow 0
		.amdhsa_exception_fp_ieee_inexact 0
		.amdhsa_exception_int_div_zero 0
	.end_amdhsa_kernel
	.section	.text._ZL40rocblas_copy_triangular_syrk_herk_kernelILb1ELb1ELb1E19rocblas_complex_numIfEPKPS1_Li16ELi16EEviT3_ilPT2_i,"axG",@progbits,_ZL40rocblas_copy_triangular_syrk_herk_kernelILb1ELb1ELb1E19rocblas_complex_numIfEPKPS1_Li16ELi16EEviT3_ilPT2_i,comdat
.Lfunc_end40:
	.size	_ZL40rocblas_copy_triangular_syrk_herk_kernelILb1ELb1ELb1E19rocblas_complex_numIfEPKPS1_Li16ELi16EEviT3_ilPT2_i, .Lfunc_end40-_ZL40rocblas_copy_triangular_syrk_herk_kernelILb1ELb1ELb1E19rocblas_complex_numIfEPKPS1_Li16ELi16EEviT3_ilPT2_i
                                        ; -- End function
	.set _ZL40rocblas_copy_triangular_syrk_herk_kernelILb1ELb1ELb1E19rocblas_complex_numIfEPKPS1_Li16ELi16EEviT3_ilPT2_i.num_vgpr, 12
	.set _ZL40rocblas_copy_triangular_syrk_herk_kernelILb1ELb1ELb1E19rocblas_complex_numIfEPKPS1_Li16ELi16EEviT3_ilPT2_i.num_agpr, 0
	.set _ZL40rocblas_copy_triangular_syrk_herk_kernelILb1ELb1ELb1E19rocblas_complex_numIfEPKPS1_Li16ELi16EEviT3_ilPT2_i.numbered_sgpr, 20
	.set _ZL40rocblas_copy_triangular_syrk_herk_kernelILb1ELb1ELb1E19rocblas_complex_numIfEPKPS1_Li16ELi16EEviT3_ilPT2_i.num_named_barrier, 0
	.set _ZL40rocblas_copy_triangular_syrk_herk_kernelILb1ELb1ELb1E19rocblas_complex_numIfEPKPS1_Li16ELi16EEviT3_ilPT2_i.private_seg_size, 0
	.set _ZL40rocblas_copy_triangular_syrk_herk_kernelILb1ELb1ELb1E19rocblas_complex_numIfEPKPS1_Li16ELi16EEviT3_ilPT2_i.uses_vcc, 1
	.set _ZL40rocblas_copy_triangular_syrk_herk_kernelILb1ELb1ELb1E19rocblas_complex_numIfEPKPS1_Li16ELi16EEviT3_ilPT2_i.uses_flat_scratch, 0
	.set _ZL40rocblas_copy_triangular_syrk_herk_kernelILb1ELb1ELb1E19rocblas_complex_numIfEPKPS1_Li16ELi16EEviT3_ilPT2_i.has_dyn_sized_stack, 0
	.set _ZL40rocblas_copy_triangular_syrk_herk_kernelILb1ELb1ELb1E19rocblas_complex_numIfEPKPS1_Li16ELi16EEviT3_ilPT2_i.has_recursion, 0
	.set _ZL40rocblas_copy_triangular_syrk_herk_kernelILb1ELb1ELb1E19rocblas_complex_numIfEPKPS1_Li16ELi16EEviT3_ilPT2_i.has_indirect_call, 0
	.section	.AMDGPU.csdata,"",@progbits
; Kernel info:
; codeLenInByte = 512
; TotalNumSgprs: 22
; NumVgprs: 12
; ScratchSize: 0
; MemoryBound: 0
; FloatMode: 240
; IeeeMode: 1
; LDSByteSize: 0 bytes/workgroup (compile time only)
; SGPRBlocks: 0
; VGPRBlocks: 0
; NumSGPRsForWavesPerEU: 22
; NumVGPRsForWavesPerEU: 12
; NamedBarCnt: 0
; Occupancy: 16
; WaveLimiterHint : 1
; COMPUTE_PGM_RSRC2:SCRATCH_EN: 0
; COMPUTE_PGM_RSRC2:USER_SGPR: 2
; COMPUTE_PGM_RSRC2:TRAP_HANDLER: 0
; COMPUTE_PGM_RSRC2:TGID_X_EN: 1
; COMPUTE_PGM_RSRC2:TGID_Y_EN: 1
; COMPUTE_PGM_RSRC2:TGID_Z_EN: 1
; COMPUTE_PGM_RSRC2:TIDIG_COMP_CNT: 1
	.section	.text._ZL40rocblas_copy_triangular_syrk_herk_kernelILb1ELb0ELb1E19rocblas_complex_numIfEPKPS1_Li16ELi16EEviT3_ilPT2_i,"axG",@progbits,_ZL40rocblas_copy_triangular_syrk_herk_kernelILb1ELb0ELb1E19rocblas_complex_numIfEPKPS1_Li16ELi16EEviT3_ilPT2_i,comdat
	.globl	_ZL40rocblas_copy_triangular_syrk_herk_kernelILb1ELb0ELb1E19rocblas_complex_numIfEPKPS1_Li16ELi16EEviT3_ilPT2_i ; -- Begin function _ZL40rocblas_copy_triangular_syrk_herk_kernelILb1ELb0ELb1E19rocblas_complex_numIfEPKPS1_Li16ELi16EEviT3_ilPT2_i
	.p2align	8
	.type	_ZL40rocblas_copy_triangular_syrk_herk_kernelILb1ELb0ELb1E19rocblas_complex_numIfEPKPS1_Li16ELi16EEviT3_ilPT2_i,@function
_ZL40rocblas_copy_triangular_syrk_herk_kernelILb1ELb0ELb1E19rocblas_complex_numIfEPKPS1_Li16ELi16EEviT3_ilPT2_i: ; @_ZL40rocblas_copy_triangular_syrk_herk_kernelILb1ELb0ELb1E19rocblas_complex_numIfEPKPS1_Li16ELi16EEviT3_ilPT2_i
; %bb.0:
	s_load_b32 s7, s[0:1], 0x28
	s_bfe_u32 s2, ttmp6, 0x40014
	s_lshr_b32 s3, ttmp7, 16
	s_add_co_i32 s2, s2, 1
	s_bfe_u32 s4, ttmp6, 0x40008
	s_mul_i32 s2, s3, s2
	s_getreg_b32 s12, hwreg(HW_REG_IB_STS2, 6, 4)
	s_add_co_i32 s4, s4, s2
	s_cmp_eq_u32 s12, 0
	s_cselect_b32 s2, s3, s4
	s_mov_b32 s3, 0
	s_wait_kmcnt 0x0
	s_cmp_ge_u32 s2, s7
	s_cbranch_scc1 .LBB41_5
; %bb.1:
	s_clause 0x3
	s_load_b32 s14, s[0:1], 0x0
	s_load_b96 s[4:6], s[0:1], 0x8
	s_load_b64 s[8:9], s[0:1], 0x20
	s_load_b32 s16, s[0:1], 0x3c
	s_wait_xcnt 0x0
	s_bfe_u32 s0, ttmp6, 0x40010
	s_and_b32 s17, ttmp7, 0xffff
	s_add_co_i32 s0, s0, 1
	s_bfe_u32 s10, ttmp6, 0x40004
	s_bfe_u32 s11, ttmp6, 0x4000c
	s_mul_i32 s0, s17, s0
	s_add_co_i32 s11, s11, 1
	s_add_co_i32 s19, s10, s0
	s_mul_i32 s18, ttmp9, s11
	s_mov_b32 s1, s3
	s_and_b32 s13, ttmp6, 15
	v_bfe_u32 v1, v0, 10, 10
	s_add_co_i32 s18, s13, s18
	v_and_b32_e32 v0, 0x3ff, v0
	s_wait_kmcnt 0x0
	s_add_co_i32 s10, s14, -1
	s_ashr_i32 s15, s14, 31
	s_ashr_i32 s11, s10, 31
	;; [unrolled: 1-line block ×3, first 2 shown]
	s_mul_u64 s[10:11], s[10:11], s[14:15]
	s_lshr_b32 s15, s16, 16
	s_lshr_b32 s0, s11, 31
	s_and_b32 s16, s16, 0xffff
	s_add_nc_u64 s[0:1], s[10:11], s[0:1]
	s_delay_alu instid0(SALU_CYCLE_1) | instskip(SKIP_3) | instid1(SALU_CYCLE_1)
	s_ashr_i64 s[10:11], s[0:1], 1
	s_cmp_eq_u32 s12, 0
	s_mov_b32 s12, s6
	s_cselect_b32 s0, s17, s19
	v_mad_u32 v2, s0, s15, v1
	s_cselect_b32 s0, ttmp9, s18
	s_delay_alu instid0(SALU_CYCLE_1) | instskip(NEXT) | instid1(VALU_DEP_2)
	v_mad_u32 v6, s0, s16, v0
	v_not_b32_e32 v3, v2
	s_delay_alu instid0(VALU_DEP_2) | instskip(NEXT) | instid1(VALU_DEP_2)
	v_cmp_lt_i32_e32 vcc_lo, v2, v6
	v_lshl_add_u32 v0, s14, 1, v3
	s_delay_alu instid0(VALU_DEP_1) | instskip(NEXT) | instid1(VALU_DEP_1)
	v_mul_lo_u32 v4, v0, v2
	v_dual_ashrrev_i32 v7, 31, v6 :: v_dual_lshrrev_b32 v5, 31, v4
	s_delay_alu instid0(VALU_DEP_1) | instskip(NEXT) | instid1(VALU_DEP_2)
	v_mul_u64_e32 v[0:1], s[12:13], v[6:7]
	v_dual_add_nc_u32 v4, v4, v5 :: v_dual_max_i32 v5, v2, v6
	s_delay_alu instid0(VALU_DEP_1) | instskip(NEXT) | instid1(VALU_DEP_2)
	v_ashrrev_i32_e32 v4, 1, v4
	v_cmp_gt_i32_e64 s0, s14, v5
	s_delay_alu instid0(VALU_DEP_2) | instskip(SKIP_2) | instid1(VALU_DEP_2)
	v_add3_u32 v4, v6, v3, v4
	v_ashrrev_i32_e32 v3, 31, v2
	s_and_b32 s0, vcc_lo, s0
	v_dual_mov_b32 v6, 0 :: v_dual_ashrrev_i32 v5, 31, v4
	s_branch .LBB41_3
.LBB41_2:                               ;   in Loop: Header=BB41_3 Depth=1
	s_wait_xcnt 0x0
	s_or_b32 exec_lo, exec_lo, s1
	s_add_co_i32 s2, s2, 0x10000
	s_delay_alu instid0(SALU_CYCLE_1)
	s_cmp_lt_u32 s2, s7
	s_cbranch_scc0 .LBB41_5
.LBB41_3:                               ; =>This Inner Loop Header: Depth=1
	s_mul_u64 s[12:13], s[10:11], s[2:3]
	s_delay_alu instid0(SALU_CYCLE_1) | instskip(NEXT) | instid1(SALU_CYCLE_1)
	s_lshl_b64 s[12:13], s[12:13], 3
	s_add_nc_u64 s[8:9], s[8:9], s[12:13]
	s_and_saveexec_b32 s1, s0
	s_cbranch_execz .LBB41_2
; %bb.4:                                ;   in Loop: Header=BB41_3 Depth=1
	s_lshl_b64 s[12:13], s[2:3], 3
	v_lshl_add_u64 v[10:11], v[4:5], 3, s[8:9]
	s_add_nc_u64 s[12:13], s[4:5], s[12:13]
	global_load_b64 v[8:9], v6, s[12:13]
	s_wait_loadcnt 0x0
	v_lshl_add_u64 v[8:9], v[0:1], 3, v[8:9]
	s_delay_alu instid0(VALU_DEP_1)
	v_lshl_add_u64 v[8:9], v[2:3], 3, v[8:9]
	flat_load_b64 v[8:9], v[8:9]
	s_wait_loadcnt_dscnt 0x0
	global_store_b64 v[10:11], v[8:9], off
	s_branch .LBB41_2
.LBB41_5:
	s_endpgm
	.section	.rodata,"a",@progbits
	.p2align	6, 0x0
	.amdhsa_kernel _ZL40rocblas_copy_triangular_syrk_herk_kernelILb1ELb0ELb1E19rocblas_complex_numIfEPKPS1_Li16ELi16EEviT3_ilPT2_i
		.amdhsa_group_segment_fixed_size 0
		.amdhsa_private_segment_fixed_size 0
		.amdhsa_kernarg_size 304
		.amdhsa_user_sgpr_count 2
		.amdhsa_user_sgpr_dispatch_ptr 0
		.amdhsa_user_sgpr_queue_ptr 0
		.amdhsa_user_sgpr_kernarg_segment_ptr 1
		.amdhsa_user_sgpr_dispatch_id 0
		.amdhsa_user_sgpr_kernarg_preload_length 0
		.amdhsa_user_sgpr_kernarg_preload_offset 0
		.amdhsa_user_sgpr_private_segment_size 0
		.amdhsa_wavefront_size32 1
		.amdhsa_uses_dynamic_stack 0
		.amdhsa_enable_private_segment 0
		.amdhsa_system_sgpr_workgroup_id_x 1
		.amdhsa_system_sgpr_workgroup_id_y 1
		.amdhsa_system_sgpr_workgroup_id_z 1
		.amdhsa_system_sgpr_workgroup_info 0
		.amdhsa_system_vgpr_workitem_id 1
		.amdhsa_next_free_vgpr 12
		.amdhsa_next_free_sgpr 20
		.amdhsa_named_barrier_count 0
		.amdhsa_reserve_vcc 1
		.amdhsa_float_round_mode_32 0
		.amdhsa_float_round_mode_16_64 0
		.amdhsa_float_denorm_mode_32 3
		.amdhsa_float_denorm_mode_16_64 3
		.amdhsa_fp16_overflow 0
		.amdhsa_memory_ordered 1
		.amdhsa_forward_progress 1
		.amdhsa_inst_pref_size 5
		.amdhsa_round_robin_scheduling 0
		.amdhsa_exception_fp_ieee_invalid_op 0
		.amdhsa_exception_fp_denorm_src 0
		.amdhsa_exception_fp_ieee_div_zero 0
		.amdhsa_exception_fp_ieee_overflow 0
		.amdhsa_exception_fp_ieee_underflow 0
		.amdhsa_exception_fp_ieee_inexact 0
		.amdhsa_exception_int_div_zero 0
	.end_amdhsa_kernel
	.section	.text._ZL40rocblas_copy_triangular_syrk_herk_kernelILb1ELb0ELb1E19rocblas_complex_numIfEPKPS1_Li16ELi16EEviT3_ilPT2_i,"axG",@progbits,_ZL40rocblas_copy_triangular_syrk_herk_kernelILb1ELb0ELb1E19rocblas_complex_numIfEPKPS1_Li16ELi16EEviT3_ilPT2_i,comdat
.Lfunc_end41:
	.size	_ZL40rocblas_copy_triangular_syrk_herk_kernelILb1ELb0ELb1E19rocblas_complex_numIfEPKPS1_Li16ELi16EEviT3_ilPT2_i, .Lfunc_end41-_ZL40rocblas_copy_triangular_syrk_herk_kernelILb1ELb0ELb1E19rocblas_complex_numIfEPKPS1_Li16ELi16EEviT3_ilPT2_i
                                        ; -- End function
	.set _ZL40rocblas_copy_triangular_syrk_herk_kernelILb1ELb0ELb1E19rocblas_complex_numIfEPKPS1_Li16ELi16EEviT3_ilPT2_i.num_vgpr, 12
	.set _ZL40rocblas_copy_triangular_syrk_herk_kernelILb1ELb0ELb1E19rocblas_complex_numIfEPKPS1_Li16ELi16EEviT3_ilPT2_i.num_agpr, 0
	.set _ZL40rocblas_copy_triangular_syrk_herk_kernelILb1ELb0ELb1E19rocblas_complex_numIfEPKPS1_Li16ELi16EEviT3_ilPT2_i.numbered_sgpr, 20
	.set _ZL40rocblas_copy_triangular_syrk_herk_kernelILb1ELb0ELb1E19rocblas_complex_numIfEPKPS1_Li16ELi16EEviT3_ilPT2_i.num_named_barrier, 0
	.set _ZL40rocblas_copy_triangular_syrk_herk_kernelILb1ELb0ELb1E19rocblas_complex_numIfEPKPS1_Li16ELi16EEviT3_ilPT2_i.private_seg_size, 0
	.set _ZL40rocblas_copy_triangular_syrk_herk_kernelILb1ELb0ELb1E19rocblas_complex_numIfEPKPS1_Li16ELi16EEviT3_ilPT2_i.uses_vcc, 1
	.set _ZL40rocblas_copy_triangular_syrk_herk_kernelILb1ELb0ELb1E19rocblas_complex_numIfEPKPS1_Li16ELi16EEviT3_ilPT2_i.uses_flat_scratch, 0
	.set _ZL40rocblas_copy_triangular_syrk_herk_kernelILb1ELb0ELb1E19rocblas_complex_numIfEPKPS1_Li16ELi16EEviT3_ilPT2_i.has_dyn_sized_stack, 0
	.set _ZL40rocblas_copy_triangular_syrk_herk_kernelILb1ELb0ELb1E19rocblas_complex_numIfEPKPS1_Li16ELi16EEviT3_ilPT2_i.has_recursion, 0
	.set _ZL40rocblas_copy_triangular_syrk_herk_kernelILb1ELb0ELb1E19rocblas_complex_numIfEPKPS1_Li16ELi16EEviT3_ilPT2_i.has_indirect_call, 0
	.section	.AMDGPU.csdata,"",@progbits
; Kernel info:
; codeLenInByte = 528
; TotalNumSgprs: 22
; NumVgprs: 12
; ScratchSize: 0
; MemoryBound: 0
; FloatMode: 240
; IeeeMode: 1
; LDSByteSize: 0 bytes/workgroup (compile time only)
; SGPRBlocks: 0
; VGPRBlocks: 0
; NumSGPRsForWavesPerEU: 22
; NumVGPRsForWavesPerEU: 12
; NamedBarCnt: 0
; Occupancy: 16
; WaveLimiterHint : 1
; COMPUTE_PGM_RSRC2:SCRATCH_EN: 0
; COMPUTE_PGM_RSRC2:USER_SGPR: 2
; COMPUTE_PGM_RSRC2:TRAP_HANDLER: 0
; COMPUTE_PGM_RSRC2:TGID_X_EN: 1
; COMPUTE_PGM_RSRC2:TGID_Y_EN: 1
; COMPUTE_PGM_RSRC2:TGID_Z_EN: 1
; COMPUTE_PGM_RSRC2:TIDIG_COMP_CNT: 1
	.section	.text._ZL40rocblas_copy_triangular_syrk_herk_kernelILb0ELb1ELb1E19rocblas_complex_numIfEPKPS1_Li16ELi16EEviT3_ilPT2_i,"axG",@progbits,_ZL40rocblas_copy_triangular_syrk_herk_kernelILb0ELb1ELb1E19rocblas_complex_numIfEPKPS1_Li16ELi16EEviT3_ilPT2_i,comdat
	.globl	_ZL40rocblas_copy_triangular_syrk_herk_kernelILb0ELb1ELb1E19rocblas_complex_numIfEPKPS1_Li16ELi16EEviT3_ilPT2_i ; -- Begin function _ZL40rocblas_copy_triangular_syrk_herk_kernelILb0ELb1ELb1E19rocblas_complex_numIfEPKPS1_Li16ELi16EEviT3_ilPT2_i
	.p2align	8
	.type	_ZL40rocblas_copy_triangular_syrk_herk_kernelILb0ELb1ELb1E19rocblas_complex_numIfEPKPS1_Li16ELi16EEviT3_ilPT2_i,@function
_ZL40rocblas_copy_triangular_syrk_herk_kernelILb0ELb1ELb1E19rocblas_complex_numIfEPKPS1_Li16ELi16EEviT3_ilPT2_i: ; @_ZL40rocblas_copy_triangular_syrk_herk_kernelILb0ELb1ELb1E19rocblas_complex_numIfEPKPS1_Li16ELi16EEviT3_ilPT2_i
; %bb.0:
	s_load_b32 s3, s[0:1], 0x28
	s_bfe_u32 s2, ttmp6, 0x40014
	s_lshr_b32 s4, ttmp7, 16
	s_add_co_i32 s2, s2, 1
	s_bfe_u32 s6, ttmp6, 0x40008
	s_mul_i32 s5, s4, s2
	s_getreg_b32 s2, hwreg(HW_REG_IB_STS2, 6, 4)
	s_add_co_i32 s6, s6, s5
	s_cmp_eq_u32 s2, 0
	s_mov_b32 s9, 0
	s_cselect_b32 s8, s4, s6
	s_wait_kmcnt 0x0
	s_cmp_ge_u32 s8, s3
	s_cbranch_scc1 .LBB42_7
; %bb.1:
	s_clause 0x3
	s_load_b32 s14, s[0:1], 0x0
	s_load_b96 s[4:6], s[0:1], 0x8
	s_load_b64 s[10:11], s[0:1], 0x20
	s_load_b32 s7, s[0:1], 0x3c
	s_wait_xcnt 0x0
	s_bfe_u32 s0, ttmp6, 0x40010
	s_and_b32 s16, ttmp7, 0xffff
	s_add_co_i32 s0, s0, 1
	s_bfe_u32 s12, ttmp6, 0x40004
	s_bfe_u32 s13, ttmp6, 0x4000c
	s_mul_i32 s0, s16, s0
	s_add_co_i32 s13, s13, 1
	s_add_co_i32 s19, s12, s0
	s_mul_i32 s18, ttmp9, s13
	s_mov_b32 s1, s9
	s_and_b32 s17, ttmp6, 15
	v_bfe_u32 v1, v0, 10, 10
	s_add_co_i32 s18, s17, s18
	v_and_b32_e32 v2, 0x3ff, v0
	v_mov_b32_e32 v10, 0
	s_wait_kmcnt 0x0
	s_add_co_i32 s12, s14, -1
	s_ashr_i32 s15, s14, 31
	s_ashr_i32 s13, s12, 31
	;; [unrolled: 1-line block ×3, first 2 shown]
	s_mul_u64 s[12:13], s[12:13], s[14:15]
	s_lshr_b32 s15, s7, 16
	s_lshr_b32 s0, s13, 31
	s_and_b32 s7, s7, 0xffff
	s_add_nc_u64 s[0:1], s[12:13], s[0:1]
	s_delay_alu instid0(SALU_CYCLE_1)
	s_ashr_i64 s[12:13], s[0:1], 1
	s_cmp_eq_u32 s2, 0
	s_cselect_b32 s0, s16, s19
	s_mov_b32 s16, s6
	v_mad_u32 v0, s0, s15, v1
	s_cselect_b32 s0, ttmp9, s18
	s_delay_alu instid0(SALU_CYCLE_1) | instskip(NEXT) | instid1(VALU_DEP_2)
	v_mad_u32 v8, s0, s7, v2
	v_add_nc_u32_e32 v1, -1, v0
	v_cmp_gt_i32_e32 vcc_lo, s14, v0
	s_delay_alu instid0(VALU_DEP_3) | instskip(SKIP_1) | instid1(VALU_DEP_4)
	v_cmp_gt_i32_e64 s0, s14, v8
	v_cmp_gt_i32_e64 s1, v0, v8
	v_mul_lo_u32 v1, v1, v0
	v_ashrrev_i32_e32 v9, 31, v8
	v_cmp_eq_u32_e64 s2, v0, v8
	s_and_b32 s0, s0, vcc_lo
	s_delay_alu instid0(SALU_CYCLE_1) | instskip(SKIP_3) | instid1(VALU_DEP_2)
	s_and_b32 s0, s0, s1
	s_and_b32 s1, vcc_lo, s2
	v_lshrrev_b32_e32 v4, 31, v1
	v_mul_u64_e32 v[2:3], s[16:17], v[8:9]
	v_add_nc_u32_e32 v4, v1, v4
	v_ashrrev_i32_e32 v1, 31, v0
	s_delay_alu instid0(VALU_DEP_2) | instskip(NEXT) | instid1(VALU_DEP_2)
	v_ashrrev_i32_e32 v6, 1, v4
	v_mad_nc_i64_i32 v[4:5], v0, s6, v[0:1]
	s_delay_alu instid0(VALU_DEP_2) | instskip(NEXT) | instid1(VALU_DEP_1)
	v_add_nc_u32_e32 v6, v6, v8
	v_ashrrev_i32_e32 v7, 31, v6
	s_branch .LBB42_3
.LBB42_2:                               ;   in Loop: Header=BB42_3 Depth=1
	s_wait_xcnt 0x0
	s_or_b32 exec_lo, exec_lo, s2
	s_add_co_i32 s8, s8, 0x10000
	s_delay_alu instid0(SALU_CYCLE_1)
	s_cmp_lt_u32 s8, s3
	s_cbranch_scc0 .LBB42_7
.LBB42_3:                               ; =>This Inner Loop Header: Depth=1
	s_wait_loadcnt 0x0
	v_mov_b32_e32 v8, s8
	s_mul_u64 s[6:7], s[12:13], s[8:9]
	s_delay_alu instid0(SALU_CYCLE_1) | instskip(NEXT) | instid1(SALU_CYCLE_1)
	s_lshl_b64 s[6:7], s[6:7], 3
	s_add_nc_u64 s[10:11], s[10:11], s[6:7]
	global_load_b64 v[8:9], v8, s[4:5] scale_offset
	s_wait_xcnt 0x0
	s_and_saveexec_b32 s2, s0
	s_cbranch_execnz .LBB42_5
; %bb.4:                                ;   in Loop: Header=BB42_3 Depth=1
	s_or_b32 exec_lo, exec_lo, s2
	s_and_saveexec_b32 s2, s1
	s_cbranch_execz .LBB42_2
	s_branch .LBB42_6
.LBB42_5:                               ;   in Loop: Header=BB42_3 Depth=1
	v_lshl_add_u64 v[12:13], v[6:7], 3, s[10:11]
	s_wait_loadcnt 0x0
	v_lshl_add_u64 v[14:15], v[2:3], 3, v[8:9]
	global_load_b64 v[12:13], v[12:13], off
	v_lshl_add_u64 v[14:15], v[0:1], 3, v[14:15]
	s_wait_loadcnt 0x0
	flat_store_b64 v[14:15], v[12:13]
	s_wait_xcnt 0x0
	s_or_b32 exec_lo, exec_lo, s2
	s_and_saveexec_b32 s2, s1
	s_cbranch_execz .LBB42_2
.LBB42_6:                               ;   in Loop: Header=BB42_3 Depth=1
	s_wait_loadcnt 0x0
	v_lshl_add_u64 v[8:9], v[4:5], 3, v[8:9]
	flat_store_b32 v[8:9], v10 offset:4
	s_branch .LBB42_2
.LBB42_7:
	s_endpgm
	.section	.rodata,"a",@progbits
	.p2align	6, 0x0
	.amdhsa_kernel _ZL40rocblas_copy_triangular_syrk_herk_kernelILb0ELb1ELb1E19rocblas_complex_numIfEPKPS1_Li16ELi16EEviT3_ilPT2_i
		.amdhsa_group_segment_fixed_size 0
		.amdhsa_private_segment_fixed_size 0
		.amdhsa_kernarg_size 304
		.amdhsa_user_sgpr_count 2
		.amdhsa_user_sgpr_dispatch_ptr 0
		.amdhsa_user_sgpr_queue_ptr 0
		.amdhsa_user_sgpr_kernarg_segment_ptr 1
		.amdhsa_user_sgpr_dispatch_id 0
		.amdhsa_user_sgpr_kernarg_preload_length 0
		.amdhsa_user_sgpr_kernarg_preload_offset 0
		.amdhsa_user_sgpr_private_segment_size 0
		.amdhsa_wavefront_size32 1
		.amdhsa_uses_dynamic_stack 0
		.amdhsa_enable_private_segment 0
		.amdhsa_system_sgpr_workgroup_id_x 1
		.amdhsa_system_sgpr_workgroup_id_y 1
		.amdhsa_system_sgpr_workgroup_id_z 1
		.amdhsa_system_sgpr_workgroup_info 0
		.amdhsa_system_vgpr_workitem_id 1
		.amdhsa_next_free_vgpr 16
		.amdhsa_next_free_sgpr 20
		.amdhsa_named_barrier_count 0
		.amdhsa_reserve_vcc 1
		.amdhsa_float_round_mode_32 0
		.amdhsa_float_round_mode_16_64 0
		.amdhsa_float_denorm_mode_32 3
		.amdhsa_float_denorm_mode_16_64 3
		.amdhsa_fp16_overflow 0
		.amdhsa_memory_ordered 1
		.amdhsa_forward_progress 1
		.amdhsa_inst_pref_size 5
		.amdhsa_round_robin_scheduling 0
		.amdhsa_exception_fp_ieee_invalid_op 0
		.amdhsa_exception_fp_denorm_src 0
		.amdhsa_exception_fp_ieee_div_zero 0
		.amdhsa_exception_fp_ieee_overflow 0
		.amdhsa_exception_fp_ieee_underflow 0
		.amdhsa_exception_fp_ieee_inexact 0
		.amdhsa_exception_int_div_zero 0
	.end_amdhsa_kernel
	.section	.text._ZL40rocblas_copy_triangular_syrk_herk_kernelILb0ELb1ELb1E19rocblas_complex_numIfEPKPS1_Li16ELi16EEviT3_ilPT2_i,"axG",@progbits,_ZL40rocblas_copy_triangular_syrk_herk_kernelILb0ELb1ELb1E19rocblas_complex_numIfEPKPS1_Li16ELi16EEviT3_ilPT2_i,comdat
.Lfunc_end42:
	.size	_ZL40rocblas_copy_triangular_syrk_herk_kernelILb0ELb1ELb1E19rocblas_complex_numIfEPKPS1_Li16ELi16EEviT3_ilPT2_i, .Lfunc_end42-_ZL40rocblas_copy_triangular_syrk_herk_kernelILb0ELb1ELb1E19rocblas_complex_numIfEPKPS1_Li16ELi16EEviT3_ilPT2_i
                                        ; -- End function
	.set _ZL40rocblas_copy_triangular_syrk_herk_kernelILb0ELb1ELb1E19rocblas_complex_numIfEPKPS1_Li16ELi16EEviT3_ilPT2_i.num_vgpr, 16
	.set _ZL40rocblas_copy_triangular_syrk_herk_kernelILb0ELb1ELb1E19rocblas_complex_numIfEPKPS1_Li16ELi16EEviT3_ilPT2_i.num_agpr, 0
	.set _ZL40rocblas_copy_triangular_syrk_herk_kernelILb0ELb1ELb1E19rocblas_complex_numIfEPKPS1_Li16ELi16EEviT3_ilPT2_i.numbered_sgpr, 20
	.set _ZL40rocblas_copy_triangular_syrk_herk_kernelILb0ELb1ELb1E19rocblas_complex_numIfEPKPS1_Li16ELi16EEviT3_ilPT2_i.num_named_barrier, 0
	.set _ZL40rocblas_copy_triangular_syrk_herk_kernelILb0ELb1ELb1E19rocblas_complex_numIfEPKPS1_Li16ELi16EEviT3_ilPT2_i.private_seg_size, 0
	.set _ZL40rocblas_copy_triangular_syrk_herk_kernelILb0ELb1ELb1E19rocblas_complex_numIfEPKPS1_Li16ELi16EEviT3_ilPT2_i.uses_vcc, 1
	.set _ZL40rocblas_copy_triangular_syrk_herk_kernelILb0ELb1ELb1E19rocblas_complex_numIfEPKPS1_Li16ELi16EEviT3_ilPT2_i.uses_flat_scratch, 0
	.set _ZL40rocblas_copy_triangular_syrk_herk_kernelILb0ELb1ELb1E19rocblas_complex_numIfEPKPS1_Li16ELi16EEviT3_ilPT2_i.has_dyn_sized_stack, 0
	.set _ZL40rocblas_copy_triangular_syrk_herk_kernelILb0ELb1ELb1E19rocblas_complex_numIfEPKPS1_Li16ELi16EEviT3_ilPT2_i.has_recursion, 0
	.set _ZL40rocblas_copy_triangular_syrk_herk_kernelILb0ELb1ELb1E19rocblas_complex_numIfEPKPS1_Li16ELi16EEviT3_ilPT2_i.has_indirect_call, 0
	.section	.AMDGPU.csdata,"",@progbits
; Kernel info:
; codeLenInByte = 588
; TotalNumSgprs: 22
; NumVgprs: 16
; ScratchSize: 0
; MemoryBound: 0
; FloatMode: 240
; IeeeMode: 1
; LDSByteSize: 0 bytes/workgroup (compile time only)
; SGPRBlocks: 0
; VGPRBlocks: 0
; NumSGPRsForWavesPerEU: 22
; NumVGPRsForWavesPerEU: 16
; NamedBarCnt: 0
; Occupancy: 16
; WaveLimiterHint : 1
; COMPUTE_PGM_RSRC2:SCRATCH_EN: 0
; COMPUTE_PGM_RSRC2:USER_SGPR: 2
; COMPUTE_PGM_RSRC2:TRAP_HANDLER: 0
; COMPUTE_PGM_RSRC2:TGID_X_EN: 1
; COMPUTE_PGM_RSRC2:TGID_Y_EN: 1
; COMPUTE_PGM_RSRC2:TGID_Z_EN: 1
; COMPUTE_PGM_RSRC2:TIDIG_COMP_CNT: 1
	.section	.text._ZL40rocblas_copy_triangular_syrk_herk_kernelILb0ELb0ELb1E19rocblas_complex_numIfEPKPS1_Li16ELi16EEviT3_ilPT2_i,"axG",@progbits,_ZL40rocblas_copy_triangular_syrk_herk_kernelILb0ELb0ELb1E19rocblas_complex_numIfEPKPS1_Li16ELi16EEviT3_ilPT2_i,comdat
	.globl	_ZL40rocblas_copy_triangular_syrk_herk_kernelILb0ELb0ELb1E19rocblas_complex_numIfEPKPS1_Li16ELi16EEviT3_ilPT2_i ; -- Begin function _ZL40rocblas_copy_triangular_syrk_herk_kernelILb0ELb0ELb1E19rocblas_complex_numIfEPKPS1_Li16ELi16EEviT3_ilPT2_i
	.p2align	8
	.type	_ZL40rocblas_copy_triangular_syrk_herk_kernelILb0ELb0ELb1E19rocblas_complex_numIfEPKPS1_Li16ELi16EEviT3_ilPT2_i,@function
_ZL40rocblas_copy_triangular_syrk_herk_kernelILb0ELb0ELb1E19rocblas_complex_numIfEPKPS1_Li16ELi16EEviT3_ilPT2_i: ; @_ZL40rocblas_copy_triangular_syrk_herk_kernelILb0ELb0ELb1E19rocblas_complex_numIfEPKPS1_Li16ELi16EEviT3_ilPT2_i
; %bb.0:
	s_load_b32 s3, s[0:1], 0x28
	s_bfe_u32 s2, ttmp6, 0x40014
	s_lshr_b32 s4, ttmp7, 16
	s_add_co_i32 s2, s2, 1
	s_bfe_u32 s6, ttmp6, 0x40008
	s_mul_i32 s5, s4, s2
	s_getreg_b32 s2, hwreg(HW_REG_IB_STS2, 6, 4)
	s_add_co_i32 s6, s6, s5
	s_cmp_eq_u32 s2, 0
	s_mov_b32 s9, 0
	s_cselect_b32 s8, s4, s6
	s_wait_kmcnt 0x0
	s_cmp_ge_u32 s8, s3
	s_cbranch_scc1 .LBB43_7
; %bb.1:
	s_clause 0x3
	s_load_b32 s14, s[0:1], 0x0
	s_load_b96 s[4:6], s[0:1], 0x8
	s_load_b64 s[10:11], s[0:1], 0x20
	s_load_b32 s7, s[0:1], 0x3c
	s_wait_xcnt 0x0
	s_bfe_u32 s0, ttmp6, 0x40010
	s_and_b32 s16, ttmp7, 0xffff
	s_add_co_i32 s0, s0, 1
	s_bfe_u32 s12, ttmp6, 0x40004
	s_bfe_u32 s13, ttmp6, 0x4000c
	s_mul_i32 s0, s16, s0
	s_add_co_i32 s13, s13, 1
	s_add_co_i32 s19, s12, s0
	s_mul_i32 s18, ttmp9, s13
	s_mov_b32 s1, s9
	s_and_b32 s17, ttmp6, 15
	v_bfe_u32 v1, v0, 10, 10
	s_add_co_i32 s18, s17, s18
	v_and_b32_e32 v0, 0x3ff, v0
	v_mov_b32_e32 v10, 0
	s_wait_kmcnt 0x0
	s_add_co_i32 s12, s14, -1
	s_ashr_i32 s15, s14, 31
	s_ashr_i32 s13, s12, 31
	;; [unrolled: 1-line block ×3, first 2 shown]
	s_mul_u64 s[12:13], s[12:13], s[14:15]
	s_lshr_b32 s15, s7, 16
	s_lshr_b32 s0, s13, 31
	s_and_b32 s7, s7, 0xffff
	s_add_nc_u64 s[0:1], s[12:13], s[0:1]
	s_delay_alu instid0(SALU_CYCLE_1)
	s_ashr_i64 s[12:13], s[0:1], 1
	s_cmp_eq_u32 s2, 0
	s_cselect_b32 s0, s16, s19
	s_mov_b32 s16, s6
	v_mad_u32 v2, s0, s15, v1
	s_cselect_b32 s0, ttmp9, s18
	s_delay_alu instid0(SALU_CYCLE_1) | instskip(NEXT) | instid1(VALU_DEP_2)
	v_mad_u32 v8, s0, s7, v0
	v_not_b32_e32 v6, v2
	v_cmp_gt_i32_e32 vcc_lo, s14, v2
	s_delay_alu instid0(VALU_DEP_3) | instskip(SKIP_1) | instid1(VALU_DEP_4)
	v_cmp_gt_i32_e64 s0, s14, v8
	v_cmp_lt_i32_e64 s1, v2, v8
	v_lshl_add_u32 v0, s14, 1, v6
	v_cmp_eq_u32_e64 s2, v2, v8
	s_and_b32 s0, s0, s1
	v_mul_lo_u32 v3, v0, v2
	v_ashrrev_i32_e32 v9, 31, v8
	s_and_b32 s1, vcc_lo, s2
	s_delay_alu instid0(VALU_DEP_2) | instskip(NEXT) | instid1(VALU_DEP_2)
	v_lshrrev_b32_e32 v4, 31, v3
	v_mul_u64_e32 v[0:1], s[16:17], v[8:9]
	s_delay_alu instid0(VALU_DEP_2) | instskip(NEXT) | instid1(VALU_DEP_1)
	v_dual_add_nc_u32 v4, v3, v4 :: v_dual_ashrrev_i32 v3, 31, v2
	v_ashrrev_i32_e32 v7, 1, v4
	s_delay_alu instid0(VALU_DEP_2) | instskip(NEXT) | instid1(VALU_DEP_2)
	v_mad_nc_i64_i32 v[4:5], v2, s6, v[2:3]
	v_add3_u32 v6, v8, v6, v7
	s_delay_alu instid0(VALU_DEP_1)
	v_ashrrev_i32_e32 v7, 31, v6
	s_branch .LBB43_3
.LBB43_2:                               ;   in Loop: Header=BB43_3 Depth=1
	s_wait_xcnt 0x0
	s_or_b32 exec_lo, exec_lo, s2
	s_add_co_i32 s8, s8, 0x10000
	s_delay_alu instid0(SALU_CYCLE_1)
	s_cmp_lt_u32 s8, s3
	s_cbranch_scc0 .LBB43_7
.LBB43_3:                               ; =>This Inner Loop Header: Depth=1
	s_wait_loadcnt 0x0
	v_mov_b32_e32 v8, s8
	s_mul_u64 s[6:7], s[12:13], s[8:9]
	s_delay_alu instid0(SALU_CYCLE_1) | instskip(NEXT) | instid1(SALU_CYCLE_1)
	s_lshl_b64 s[6:7], s[6:7], 3
	s_add_nc_u64 s[10:11], s[10:11], s[6:7]
	global_load_b64 v[8:9], v8, s[4:5] scale_offset
	s_wait_xcnt 0x0
	s_and_saveexec_b32 s2, s0
	s_cbranch_execnz .LBB43_5
; %bb.4:                                ;   in Loop: Header=BB43_3 Depth=1
	s_or_b32 exec_lo, exec_lo, s2
	s_and_saveexec_b32 s2, s1
	s_cbranch_execz .LBB43_2
	s_branch .LBB43_6
.LBB43_5:                               ;   in Loop: Header=BB43_3 Depth=1
	v_lshl_add_u64 v[12:13], v[6:7], 3, s[10:11]
	s_wait_loadcnt 0x0
	v_lshl_add_u64 v[14:15], v[0:1], 3, v[8:9]
	global_load_b64 v[12:13], v[12:13], off
	v_lshl_add_u64 v[14:15], v[2:3], 3, v[14:15]
	s_wait_loadcnt 0x0
	flat_store_b64 v[14:15], v[12:13]
	s_wait_xcnt 0x0
	s_or_b32 exec_lo, exec_lo, s2
	s_and_saveexec_b32 s2, s1
	s_cbranch_execz .LBB43_2
.LBB43_6:                               ;   in Loop: Header=BB43_3 Depth=1
	s_wait_loadcnt 0x0
	v_lshl_add_u64 v[8:9], v[4:5], 3, v[8:9]
	flat_store_b32 v[8:9], v10 offset:4
	s_branch .LBB43_2
.LBB43_7:
	s_endpgm
	.section	.rodata,"a",@progbits
	.p2align	6, 0x0
	.amdhsa_kernel _ZL40rocblas_copy_triangular_syrk_herk_kernelILb0ELb0ELb1E19rocblas_complex_numIfEPKPS1_Li16ELi16EEviT3_ilPT2_i
		.amdhsa_group_segment_fixed_size 0
		.amdhsa_private_segment_fixed_size 0
		.amdhsa_kernarg_size 304
		.amdhsa_user_sgpr_count 2
		.amdhsa_user_sgpr_dispatch_ptr 0
		.amdhsa_user_sgpr_queue_ptr 0
		.amdhsa_user_sgpr_kernarg_segment_ptr 1
		.amdhsa_user_sgpr_dispatch_id 0
		.amdhsa_user_sgpr_kernarg_preload_length 0
		.amdhsa_user_sgpr_kernarg_preload_offset 0
		.amdhsa_user_sgpr_private_segment_size 0
		.amdhsa_wavefront_size32 1
		.amdhsa_uses_dynamic_stack 0
		.amdhsa_enable_private_segment 0
		.amdhsa_system_sgpr_workgroup_id_x 1
		.amdhsa_system_sgpr_workgroup_id_y 1
		.amdhsa_system_sgpr_workgroup_id_z 1
		.amdhsa_system_sgpr_workgroup_info 0
		.amdhsa_system_vgpr_workitem_id 1
		.amdhsa_next_free_vgpr 16
		.amdhsa_next_free_sgpr 20
		.amdhsa_named_barrier_count 0
		.amdhsa_reserve_vcc 1
		.amdhsa_float_round_mode_32 0
		.amdhsa_float_round_mode_16_64 0
		.amdhsa_float_denorm_mode_32 3
		.amdhsa_float_denorm_mode_16_64 3
		.amdhsa_fp16_overflow 0
		.amdhsa_memory_ordered 1
		.amdhsa_forward_progress 1
		.amdhsa_inst_pref_size 5
		.amdhsa_round_robin_scheduling 0
		.amdhsa_exception_fp_ieee_invalid_op 0
		.amdhsa_exception_fp_denorm_src 0
		.amdhsa_exception_fp_ieee_div_zero 0
		.amdhsa_exception_fp_ieee_overflow 0
		.amdhsa_exception_fp_ieee_underflow 0
		.amdhsa_exception_fp_ieee_inexact 0
		.amdhsa_exception_int_div_zero 0
	.end_amdhsa_kernel
	.section	.text._ZL40rocblas_copy_triangular_syrk_herk_kernelILb0ELb0ELb1E19rocblas_complex_numIfEPKPS1_Li16ELi16EEviT3_ilPT2_i,"axG",@progbits,_ZL40rocblas_copy_triangular_syrk_herk_kernelILb0ELb0ELb1E19rocblas_complex_numIfEPKPS1_Li16ELi16EEviT3_ilPT2_i,comdat
.Lfunc_end43:
	.size	_ZL40rocblas_copy_triangular_syrk_herk_kernelILb0ELb0ELb1E19rocblas_complex_numIfEPKPS1_Li16ELi16EEviT3_ilPT2_i, .Lfunc_end43-_ZL40rocblas_copy_triangular_syrk_herk_kernelILb0ELb0ELb1E19rocblas_complex_numIfEPKPS1_Li16ELi16EEviT3_ilPT2_i
                                        ; -- End function
	.set _ZL40rocblas_copy_triangular_syrk_herk_kernelILb0ELb0ELb1E19rocblas_complex_numIfEPKPS1_Li16ELi16EEviT3_ilPT2_i.num_vgpr, 16
	.set _ZL40rocblas_copy_triangular_syrk_herk_kernelILb0ELb0ELb1E19rocblas_complex_numIfEPKPS1_Li16ELi16EEviT3_ilPT2_i.num_agpr, 0
	.set _ZL40rocblas_copy_triangular_syrk_herk_kernelILb0ELb0ELb1E19rocblas_complex_numIfEPKPS1_Li16ELi16EEviT3_ilPT2_i.numbered_sgpr, 20
	.set _ZL40rocblas_copy_triangular_syrk_herk_kernelILb0ELb0ELb1E19rocblas_complex_numIfEPKPS1_Li16ELi16EEviT3_ilPT2_i.num_named_barrier, 0
	.set _ZL40rocblas_copy_triangular_syrk_herk_kernelILb0ELb0ELb1E19rocblas_complex_numIfEPKPS1_Li16ELi16EEviT3_ilPT2_i.private_seg_size, 0
	.set _ZL40rocblas_copy_triangular_syrk_herk_kernelILb0ELb0ELb1E19rocblas_complex_numIfEPKPS1_Li16ELi16EEviT3_ilPT2_i.uses_vcc, 1
	.set _ZL40rocblas_copy_triangular_syrk_herk_kernelILb0ELb0ELb1E19rocblas_complex_numIfEPKPS1_Li16ELi16EEviT3_ilPT2_i.uses_flat_scratch, 0
	.set _ZL40rocblas_copy_triangular_syrk_herk_kernelILb0ELb0ELb1E19rocblas_complex_numIfEPKPS1_Li16ELi16EEviT3_ilPT2_i.has_dyn_sized_stack, 0
	.set _ZL40rocblas_copy_triangular_syrk_herk_kernelILb0ELb0ELb1E19rocblas_complex_numIfEPKPS1_Li16ELi16EEviT3_ilPT2_i.has_recursion, 0
	.set _ZL40rocblas_copy_triangular_syrk_herk_kernelILb0ELb0ELb1E19rocblas_complex_numIfEPKPS1_Li16ELi16EEviT3_ilPT2_i.has_indirect_call, 0
	.section	.AMDGPU.csdata,"",@progbits
; Kernel info:
; codeLenInByte = 604
; TotalNumSgprs: 22
; NumVgprs: 16
; ScratchSize: 0
; MemoryBound: 0
; FloatMode: 240
; IeeeMode: 1
; LDSByteSize: 0 bytes/workgroup (compile time only)
; SGPRBlocks: 0
; VGPRBlocks: 0
; NumSGPRsForWavesPerEU: 22
; NumVGPRsForWavesPerEU: 16
; NamedBarCnt: 0
; Occupancy: 16
; WaveLimiterHint : 1
; COMPUTE_PGM_RSRC2:SCRATCH_EN: 0
; COMPUTE_PGM_RSRC2:USER_SGPR: 2
; COMPUTE_PGM_RSRC2:TRAP_HANDLER: 0
; COMPUTE_PGM_RSRC2:TGID_X_EN: 1
; COMPUTE_PGM_RSRC2:TGID_Y_EN: 1
; COMPUTE_PGM_RSRC2:TGID_Z_EN: 1
; COMPUTE_PGM_RSRC2:TIDIG_COMP_CNT: 1
	.section	.text._ZL40rocblas_copy_triangular_syrk_herk_kernelILb1ELb1ELb1E19rocblas_complex_numIdEPKPS1_Li16ELi16EEviT3_ilPT2_i,"axG",@progbits,_ZL40rocblas_copy_triangular_syrk_herk_kernelILb1ELb1ELb1E19rocblas_complex_numIdEPKPS1_Li16ELi16EEviT3_ilPT2_i,comdat
	.globl	_ZL40rocblas_copy_triangular_syrk_herk_kernelILb1ELb1ELb1E19rocblas_complex_numIdEPKPS1_Li16ELi16EEviT3_ilPT2_i ; -- Begin function _ZL40rocblas_copy_triangular_syrk_herk_kernelILb1ELb1ELb1E19rocblas_complex_numIdEPKPS1_Li16ELi16EEviT3_ilPT2_i
	.p2align	8
	.type	_ZL40rocblas_copy_triangular_syrk_herk_kernelILb1ELb1ELb1E19rocblas_complex_numIdEPKPS1_Li16ELi16EEviT3_ilPT2_i,@function
_ZL40rocblas_copy_triangular_syrk_herk_kernelILb1ELb1ELb1E19rocblas_complex_numIdEPKPS1_Li16ELi16EEviT3_ilPT2_i: ; @_ZL40rocblas_copy_triangular_syrk_herk_kernelILb1ELb1ELb1E19rocblas_complex_numIdEPKPS1_Li16ELi16EEviT3_ilPT2_i
; %bb.0:
	s_load_b32 s7, s[0:1], 0x28
	s_bfe_u32 s2, ttmp6, 0x40014
	s_lshr_b32 s3, ttmp7, 16
	s_add_co_i32 s2, s2, 1
	s_bfe_u32 s4, ttmp6, 0x40008
	s_mul_i32 s2, s3, s2
	s_getreg_b32 s12, hwreg(HW_REG_IB_STS2, 6, 4)
	s_add_co_i32 s4, s4, s2
	s_cmp_eq_u32 s12, 0
	s_cselect_b32 s2, s3, s4
	s_mov_b32 s3, 0
	s_wait_kmcnt 0x0
	s_cmp_ge_u32 s2, s7
	s_cbranch_scc1 .LBB44_5
; %bb.1:
	s_clause 0x3
	s_load_b32 s14, s[0:1], 0x0
	s_load_b96 s[4:6], s[0:1], 0x8
	s_load_b64 s[8:9], s[0:1], 0x20
	s_load_b32 s16, s[0:1], 0x3c
	s_wait_xcnt 0x0
	s_bfe_u32 s0, ttmp6, 0x40010
	s_and_b32 s17, ttmp7, 0xffff
	s_add_co_i32 s0, s0, 1
	s_bfe_u32 s10, ttmp6, 0x40004
	s_bfe_u32 s11, ttmp6, 0x4000c
	s_mul_i32 s0, s17, s0
	s_add_co_i32 s11, s11, 1
	s_add_co_i32 s19, s10, s0
	s_mul_i32 s18, ttmp9, s11
	s_mov_b32 s1, s3
	s_and_b32 s13, ttmp6, 15
	v_bfe_u32 v1, v0, 10, 10
	s_add_co_i32 s18, s13, s18
	v_and_b32_e32 v2, 0x3ff, v0
	s_wait_kmcnt 0x0
	s_add_co_i32 s10, s14, -1
	s_ashr_i32 s15, s14, 31
	s_ashr_i32 s11, s10, 31
	;; [unrolled: 1-line block ×3, first 2 shown]
	s_mul_u64 s[10:11], s[10:11], s[14:15]
	s_lshr_b32 s15, s16, 16
	s_lshr_b32 s0, s11, 31
	s_and_b32 s16, s16, 0xffff
	s_add_nc_u64 s[0:1], s[10:11], s[0:1]
	s_delay_alu instid0(SALU_CYCLE_1) | instskip(SKIP_3) | instid1(SALU_CYCLE_1)
	s_ashr_i64 s[10:11], s[0:1], 1
	s_cmp_eq_u32 s12, 0
	s_mov_b32 s12, s6
	s_cselect_b32 s0, s17, s19
	v_mad_u32 v0, s0, s15, v1
	s_cselect_b32 s0, ttmp9, s18
	s_delay_alu instid0(SALU_CYCLE_1) | instskip(NEXT) | instid1(VALU_DEP_1)
	v_mad_u32 v6, s0, s16, v2
	v_dual_add_nc_u32 v1, -1, v0 :: v_dual_ashrrev_i32 v7, 31, v6
	v_cmp_gt_i32_e32 vcc_lo, v0, v6
	s_delay_alu instid0(VALU_DEP_2) | instskip(SKIP_1) | instid1(VALU_DEP_4)
	v_mul_lo_u32 v1, v1, v0
	v_max_i32_e32 v5, v0, v6
	v_mul_u64_e32 v[2:3], s[12:13], v[6:7]
	s_delay_alu instid0(VALU_DEP_2) | instskip(NEXT) | instid1(VALU_DEP_4)
	v_cmp_gt_i32_e64 s0, s14, v5
	v_lshrrev_b32_e32 v4, 31, v1
	s_and_b32 s0, vcc_lo, s0
	s_delay_alu instid0(VALU_DEP_1) | instskip(NEXT) | instid1(VALU_DEP_1)
	v_add_nc_u32_e32 v1, v1, v4
	v_ashrrev_i32_e32 v1, 1, v1
	s_delay_alu instid0(VALU_DEP_1) | instskip(NEXT) | instid1(VALU_DEP_1)
	v_dual_add_nc_u32 v4, v1, v6 :: v_dual_ashrrev_i32 v1, 31, v0
	v_dual_mov_b32 v6, 0 :: v_dual_ashrrev_i32 v5, 31, v4
	s_branch .LBB44_3
.LBB44_2:                               ;   in Loop: Header=BB44_3 Depth=1
	s_wait_xcnt 0x0
	s_or_b32 exec_lo, exec_lo, s1
	s_add_co_i32 s2, s2, 0x10000
	s_delay_alu instid0(SALU_CYCLE_1)
	s_cmp_lt_u32 s2, s7
	s_cbranch_scc0 .LBB44_5
.LBB44_3:                               ; =>This Inner Loop Header: Depth=1
	s_mul_u64 s[12:13], s[10:11], s[2:3]
	s_delay_alu instid0(SALU_CYCLE_1) | instskip(NEXT) | instid1(SALU_CYCLE_1)
	s_lshl_b64 s[12:13], s[12:13], 4
	s_add_nc_u64 s[8:9], s[8:9], s[12:13]
	s_and_saveexec_b32 s1, s0
	s_cbranch_execz .LBB44_2
; %bb.4:                                ;   in Loop: Header=BB44_3 Depth=1
	s_lshl_b64 s[12:13], s[2:3], 3
	v_lshl_add_u64 v[12:13], v[4:5], 4, s[8:9]
	s_add_nc_u64 s[12:13], s[4:5], s[12:13]
	global_load_b64 v[8:9], v6, s[12:13]
	s_wait_loadcnt 0x0
	v_lshl_add_u64 v[8:9], v[2:3], 4, v[8:9]
	s_delay_alu instid0(VALU_DEP_1)
	v_lshl_add_u64 v[8:9], v[0:1], 4, v[8:9]
	flat_load_b128 v[8:11], v[8:9]
	s_wait_loadcnt_dscnt 0x0
	global_store_b128 v[12:13], v[8:11], off
	s_branch .LBB44_2
.LBB44_5:
	s_endpgm
	.section	.rodata,"a",@progbits
	.p2align	6, 0x0
	.amdhsa_kernel _ZL40rocblas_copy_triangular_syrk_herk_kernelILb1ELb1ELb1E19rocblas_complex_numIdEPKPS1_Li16ELi16EEviT3_ilPT2_i
		.amdhsa_group_segment_fixed_size 0
		.amdhsa_private_segment_fixed_size 0
		.amdhsa_kernarg_size 304
		.amdhsa_user_sgpr_count 2
		.amdhsa_user_sgpr_dispatch_ptr 0
		.amdhsa_user_sgpr_queue_ptr 0
		.amdhsa_user_sgpr_kernarg_segment_ptr 1
		.amdhsa_user_sgpr_dispatch_id 0
		.amdhsa_user_sgpr_kernarg_preload_length 0
		.amdhsa_user_sgpr_kernarg_preload_offset 0
		.amdhsa_user_sgpr_private_segment_size 0
		.amdhsa_wavefront_size32 1
		.amdhsa_uses_dynamic_stack 0
		.amdhsa_enable_private_segment 0
		.amdhsa_system_sgpr_workgroup_id_x 1
		.amdhsa_system_sgpr_workgroup_id_y 1
		.amdhsa_system_sgpr_workgroup_id_z 1
		.amdhsa_system_sgpr_workgroup_info 0
		.amdhsa_system_vgpr_workitem_id 1
		.amdhsa_next_free_vgpr 14
		.amdhsa_next_free_sgpr 20
		.amdhsa_named_barrier_count 0
		.amdhsa_reserve_vcc 1
		.amdhsa_float_round_mode_32 0
		.amdhsa_float_round_mode_16_64 0
		.amdhsa_float_denorm_mode_32 3
		.amdhsa_float_denorm_mode_16_64 3
		.amdhsa_fp16_overflow 0
		.amdhsa_memory_ordered 1
		.amdhsa_forward_progress 1
		.amdhsa_inst_pref_size 4
		.amdhsa_round_robin_scheduling 0
		.amdhsa_exception_fp_ieee_invalid_op 0
		.amdhsa_exception_fp_denorm_src 0
		.amdhsa_exception_fp_ieee_div_zero 0
		.amdhsa_exception_fp_ieee_overflow 0
		.amdhsa_exception_fp_ieee_underflow 0
		.amdhsa_exception_fp_ieee_inexact 0
		.amdhsa_exception_int_div_zero 0
	.end_amdhsa_kernel
	.section	.text._ZL40rocblas_copy_triangular_syrk_herk_kernelILb1ELb1ELb1E19rocblas_complex_numIdEPKPS1_Li16ELi16EEviT3_ilPT2_i,"axG",@progbits,_ZL40rocblas_copy_triangular_syrk_herk_kernelILb1ELb1ELb1E19rocblas_complex_numIdEPKPS1_Li16ELi16EEviT3_ilPT2_i,comdat
.Lfunc_end44:
	.size	_ZL40rocblas_copy_triangular_syrk_herk_kernelILb1ELb1ELb1E19rocblas_complex_numIdEPKPS1_Li16ELi16EEviT3_ilPT2_i, .Lfunc_end44-_ZL40rocblas_copy_triangular_syrk_herk_kernelILb1ELb1ELb1E19rocblas_complex_numIdEPKPS1_Li16ELi16EEviT3_ilPT2_i
                                        ; -- End function
	.set _ZL40rocblas_copy_triangular_syrk_herk_kernelILb1ELb1ELb1E19rocblas_complex_numIdEPKPS1_Li16ELi16EEviT3_ilPT2_i.num_vgpr, 14
	.set _ZL40rocblas_copy_triangular_syrk_herk_kernelILb1ELb1ELb1E19rocblas_complex_numIdEPKPS1_Li16ELi16EEviT3_ilPT2_i.num_agpr, 0
	.set _ZL40rocblas_copy_triangular_syrk_herk_kernelILb1ELb1ELb1E19rocblas_complex_numIdEPKPS1_Li16ELi16EEviT3_ilPT2_i.numbered_sgpr, 20
	.set _ZL40rocblas_copy_triangular_syrk_herk_kernelILb1ELb1ELb1E19rocblas_complex_numIdEPKPS1_Li16ELi16EEviT3_ilPT2_i.num_named_barrier, 0
	.set _ZL40rocblas_copy_triangular_syrk_herk_kernelILb1ELb1ELb1E19rocblas_complex_numIdEPKPS1_Li16ELi16EEviT3_ilPT2_i.private_seg_size, 0
	.set _ZL40rocblas_copy_triangular_syrk_herk_kernelILb1ELb1ELb1E19rocblas_complex_numIdEPKPS1_Li16ELi16EEviT3_ilPT2_i.uses_vcc, 1
	.set _ZL40rocblas_copy_triangular_syrk_herk_kernelILb1ELb1ELb1E19rocblas_complex_numIdEPKPS1_Li16ELi16EEviT3_ilPT2_i.uses_flat_scratch, 0
	.set _ZL40rocblas_copy_triangular_syrk_herk_kernelILb1ELb1ELb1E19rocblas_complex_numIdEPKPS1_Li16ELi16EEviT3_ilPT2_i.has_dyn_sized_stack, 0
	.set _ZL40rocblas_copy_triangular_syrk_herk_kernelILb1ELb1ELb1E19rocblas_complex_numIdEPKPS1_Li16ELi16EEviT3_ilPT2_i.has_recursion, 0
	.set _ZL40rocblas_copy_triangular_syrk_herk_kernelILb1ELb1ELb1E19rocblas_complex_numIdEPKPS1_Li16ELi16EEviT3_ilPT2_i.has_indirect_call, 0
	.section	.AMDGPU.csdata,"",@progbits
; Kernel info:
; codeLenInByte = 512
; TotalNumSgprs: 22
; NumVgprs: 14
; ScratchSize: 0
; MemoryBound: 0
; FloatMode: 240
; IeeeMode: 1
; LDSByteSize: 0 bytes/workgroup (compile time only)
; SGPRBlocks: 0
; VGPRBlocks: 0
; NumSGPRsForWavesPerEU: 22
; NumVGPRsForWavesPerEU: 14
; NamedBarCnt: 0
; Occupancy: 16
; WaveLimiterHint : 0
; COMPUTE_PGM_RSRC2:SCRATCH_EN: 0
; COMPUTE_PGM_RSRC2:USER_SGPR: 2
; COMPUTE_PGM_RSRC2:TRAP_HANDLER: 0
; COMPUTE_PGM_RSRC2:TGID_X_EN: 1
; COMPUTE_PGM_RSRC2:TGID_Y_EN: 1
; COMPUTE_PGM_RSRC2:TGID_Z_EN: 1
; COMPUTE_PGM_RSRC2:TIDIG_COMP_CNT: 1
	.section	.text._ZL40rocblas_copy_triangular_syrk_herk_kernelILb1ELb0ELb1E19rocblas_complex_numIdEPKPS1_Li16ELi16EEviT3_ilPT2_i,"axG",@progbits,_ZL40rocblas_copy_triangular_syrk_herk_kernelILb1ELb0ELb1E19rocblas_complex_numIdEPKPS1_Li16ELi16EEviT3_ilPT2_i,comdat
	.globl	_ZL40rocblas_copy_triangular_syrk_herk_kernelILb1ELb0ELb1E19rocblas_complex_numIdEPKPS1_Li16ELi16EEviT3_ilPT2_i ; -- Begin function _ZL40rocblas_copy_triangular_syrk_herk_kernelILb1ELb0ELb1E19rocblas_complex_numIdEPKPS1_Li16ELi16EEviT3_ilPT2_i
	.p2align	8
	.type	_ZL40rocblas_copy_triangular_syrk_herk_kernelILb1ELb0ELb1E19rocblas_complex_numIdEPKPS1_Li16ELi16EEviT3_ilPT2_i,@function
_ZL40rocblas_copy_triangular_syrk_herk_kernelILb1ELb0ELb1E19rocblas_complex_numIdEPKPS1_Li16ELi16EEviT3_ilPT2_i: ; @_ZL40rocblas_copy_triangular_syrk_herk_kernelILb1ELb0ELb1E19rocblas_complex_numIdEPKPS1_Li16ELi16EEviT3_ilPT2_i
; %bb.0:
	s_load_b32 s7, s[0:1], 0x28
	s_bfe_u32 s2, ttmp6, 0x40014
	s_lshr_b32 s3, ttmp7, 16
	s_add_co_i32 s2, s2, 1
	s_bfe_u32 s4, ttmp6, 0x40008
	s_mul_i32 s2, s3, s2
	s_getreg_b32 s12, hwreg(HW_REG_IB_STS2, 6, 4)
	s_add_co_i32 s4, s4, s2
	s_cmp_eq_u32 s12, 0
	s_cselect_b32 s2, s3, s4
	s_mov_b32 s3, 0
	s_wait_kmcnt 0x0
	s_cmp_ge_u32 s2, s7
	s_cbranch_scc1 .LBB45_5
; %bb.1:
	s_clause 0x3
	s_load_b32 s14, s[0:1], 0x0
	s_load_b96 s[4:6], s[0:1], 0x8
	s_load_b64 s[8:9], s[0:1], 0x20
	s_load_b32 s16, s[0:1], 0x3c
	s_wait_xcnt 0x0
	s_bfe_u32 s0, ttmp6, 0x40010
	s_and_b32 s17, ttmp7, 0xffff
	s_add_co_i32 s0, s0, 1
	s_bfe_u32 s10, ttmp6, 0x40004
	s_bfe_u32 s11, ttmp6, 0x4000c
	s_mul_i32 s0, s17, s0
	s_add_co_i32 s11, s11, 1
	s_add_co_i32 s19, s10, s0
	s_mul_i32 s18, ttmp9, s11
	s_mov_b32 s1, s3
	s_and_b32 s13, ttmp6, 15
	v_bfe_u32 v1, v0, 10, 10
	s_add_co_i32 s18, s13, s18
	v_and_b32_e32 v0, 0x3ff, v0
	s_wait_kmcnt 0x0
	s_add_co_i32 s10, s14, -1
	s_ashr_i32 s15, s14, 31
	s_ashr_i32 s11, s10, 31
	;; [unrolled: 1-line block ×3, first 2 shown]
	s_mul_u64 s[10:11], s[10:11], s[14:15]
	s_lshr_b32 s15, s16, 16
	s_lshr_b32 s0, s11, 31
	s_and_b32 s16, s16, 0xffff
	s_add_nc_u64 s[0:1], s[10:11], s[0:1]
	s_delay_alu instid0(SALU_CYCLE_1) | instskip(SKIP_3) | instid1(SALU_CYCLE_1)
	s_ashr_i64 s[10:11], s[0:1], 1
	s_cmp_eq_u32 s12, 0
	s_mov_b32 s12, s6
	s_cselect_b32 s0, s17, s19
	v_mad_u32 v2, s0, s15, v1
	s_cselect_b32 s0, ttmp9, s18
	s_delay_alu instid0(SALU_CYCLE_1) | instskip(NEXT) | instid1(VALU_DEP_2)
	v_mad_u32 v6, s0, s16, v0
	v_not_b32_e32 v3, v2
	s_delay_alu instid0(VALU_DEP_2) | instskip(NEXT) | instid1(VALU_DEP_2)
	v_cmp_lt_i32_e32 vcc_lo, v2, v6
	v_lshl_add_u32 v0, s14, 1, v3
	s_delay_alu instid0(VALU_DEP_1) | instskip(NEXT) | instid1(VALU_DEP_1)
	v_mul_lo_u32 v4, v0, v2
	v_dual_ashrrev_i32 v7, 31, v6 :: v_dual_lshrrev_b32 v5, 31, v4
	s_delay_alu instid0(VALU_DEP_1) | instskip(NEXT) | instid1(VALU_DEP_2)
	v_mul_u64_e32 v[0:1], s[12:13], v[6:7]
	v_dual_add_nc_u32 v4, v4, v5 :: v_dual_max_i32 v5, v2, v6
	s_delay_alu instid0(VALU_DEP_1) | instskip(NEXT) | instid1(VALU_DEP_2)
	v_ashrrev_i32_e32 v4, 1, v4
	v_cmp_gt_i32_e64 s0, s14, v5
	s_delay_alu instid0(VALU_DEP_2) | instskip(SKIP_2) | instid1(VALU_DEP_2)
	v_add3_u32 v4, v6, v3, v4
	v_ashrrev_i32_e32 v3, 31, v2
	s_and_b32 s0, vcc_lo, s0
	v_dual_mov_b32 v6, 0 :: v_dual_ashrrev_i32 v5, 31, v4
	s_branch .LBB45_3
.LBB45_2:                               ;   in Loop: Header=BB45_3 Depth=1
	s_wait_xcnt 0x0
	s_or_b32 exec_lo, exec_lo, s1
	s_add_co_i32 s2, s2, 0x10000
	s_delay_alu instid0(SALU_CYCLE_1)
	s_cmp_lt_u32 s2, s7
	s_cbranch_scc0 .LBB45_5
.LBB45_3:                               ; =>This Inner Loop Header: Depth=1
	s_mul_u64 s[12:13], s[10:11], s[2:3]
	s_delay_alu instid0(SALU_CYCLE_1) | instskip(NEXT) | instid1(SALU_CYCLE_1)
	s_lshl_b64 s[12:13], s[12:13], 4
	s_add_nc_u64 s[8:9], s[8:9], s[12:13]
	s_and_saveexec_b32 s1, s0
	s_cbranch_execz .LBB45_2
; %bb.4:                                ;   in Loop: Header=BB45_3 Depth=1
	s_lshl_b64 s[12:13], s[2:3], 3
	v_lshl_add_u64 v[12:13], v[4:5], 4, s[8:9]
	s_add_nc_u64 s[12:13], s[4:5], s[12:13]
	global_load_b64 v[8:9], v6, s[12:13]
	s_wait_loadcnt 0x0
	v_lshl_add_u64 v[8:9], v[0:1], 4, v[8:9]
	s_delay_alu instid0(VALU_DEP_1)
	v_lshl_add_u64 v[8:9], v[2:3], 4, v[8:9]
	flat_load_b128 v[8:11], v[8:9]
	s_wait_loadcnt_dscnt 0x0
	global_store_b128 v[12:13], v[8:11], off
	s_branch .LBB45_2
.LBB45_5:
	s_endpgm
	.section	.rodata,"a",@progbits
	.p2align	6, 0x0
	.amdhsa_kernel _ZL40rocblas_copy_triangular_syrk_herk_kernelILb1ELb0ELb1E19rocblas_complex_numIdEPKPS1_Li16ELi16EEviT3_ilPT2_i
		.amdhsa_group_segment_fixed_size 0
		.amdhsa_private_segment_fixed_size 0
		.amdhsa_kernarg_size 304
		.amdhsa_user_sgpr_count 2
		.amdhsa_user_sgpr_dispatch_ptr 0
		.amdhsa_user_sgpr_queue_ptr 0
		.amdhsa_user_sgpr_kernarg_segment_ptr 1
		.amdhsa_user_sgpr_dispatch_id 0
		.amdhsa_user_sgpr_kernarg_preload_length 0
		.amdhsa_user_sgpr_kernarg_preload_offset 0
		.amdhsa_user_sgpr_private_segment_size 0
		.amdhsa_wavefront_size32 1
		.amdhsa_uses_dynamic_stack 0
		.amdhsa_enable_private_segment 0
		.amdhsa_system_sgpr_workgroup_id_x 1
		.amdhsa_system_sgpr_workgroup_id_y 1
		.amdhsa_system_sgpr_workgroup_id_z 1
		.amdhsa_system_sgpr_workgroup_info 0
		.amdhsa_system_vgpr_workitem_id 1
		.amdhsa_next_free_vgpr 14
		.amdhsa_next_free_sgpr 20
		.amdhsa_named_barrier_count 0
		.amdhsa_reserve_vcc 1
		.amdhsa_float_round_mode_32 0
		.amdhsa_float_round_mode_16_64 0
		.amdhsa_float_denorm_mode_32 3
		.amdhsa_float_denorm_mode_16_64 3
		.amdhsa_fp16_overflow 0
		.amdhsa_memory_ordered 1
		.amdhsa_forward_progress 1
		.amdhsa_inst_pref_size 5
		.amdhsa_round_robin_scheduling 0
		.amdhsa_exception_fp_ieee_invalid_op 0
		.amdhsa_exception_fp_denorm_src 0
		.amdhsa_exception_fp_ieee_div_zero 0
		.amdhsa_exception_fp_ieee_overflow 0
		.amdhsa_exception_fp_ieee_underflow 0
		.amdhsa_exception_fp_ieee_inexact 0
		.amdhsa_exception_int_div_zero 0
	.end_amdhsa_kernel
	.section	.text._ZL40rocblas_copy_triangular_syrk_herk_kernelILb1ELb0ELb1E19rocblas_complex_numIdEPKPS1_Li16ELi16EEviT3_ilPT2_i,"axG",@progbits,_ZL40rocblas_copy_triangular_syrk_herk_kernelILb1ELb0ELb1E19rocblas_complex_numIdEPKPS1_Li16ELi16EEviT3_ilPT2_i,comdat
.Lfunc_end45:
	.size	_ZL40rocblas_copy_triangular_syrk_herk_kernelILb1ELb0ELb1E19rocblas_complex_numIdEPKPS1_Li16ELi16EEviT3_ilPT2_i, .Lfunc_end45-_ZL40rocblas_copy_triangular_syrk_herk_kernelILb1ELb0ELb1E19rocblas_complex_numIdEPKPS1_Li16ELi16EEviT3_ilPT2_i
                                        ; -- End function
	.set _ZL40rocblas_copy_triangular_syrk_herk_kernelILb1ELb0ELb1E19rocblas_complex_numIdEPKPS1_Li16ELi16EEviT3_ilPT2_i.num_vgpr, 14
	.set _ZL40rocblas_copy_triangular_syrk_herk_kernelILb1ELb0ELb1E19rocblas_complex_numIdEPKPS1_Li16ELi16EEviT3_ilPT2_i.num_agpr, 0
	.set _ZL40rocblas_copy_triangular_syrk_herk_kernelILb1ELb0ELb1E19rocblas_complex_numIdEPKPS1_Li16ELi16EEviT3_ilPT2_i.numbered_sgpr, 20
	.set _ZL40rocblas_copy_triangular_syrk_herk_kernelILb1ELb0ELb1E19rocblas_complex_numIdEPKPS1_Li16ELi16EEviT3_ilPT2_i.num_named_barrier, 0
	.set _ZL40rocblas_copy_triangular_syrk_herk_kernelILb1ELb0ELb1E19rocblas_complex_numIdEPKPS1_Li16ELi16EEviT3_ilPT2_i.private_seg_size, 0
	.set _ZL40rocblas_copy_triangular_syrk_herk_kernelILb1ELb0ELb1E19rocblas_complex_numIdEPKPS1_Li16ELi16EEviT3_ilPT2_i.uses_vcc, 1
	.set _ZL40rocblas_copy_triangular_syrk_herk_kernelILb1ELb0ELb1E19rocblas_complex_numIdEPKPS1_Li16ELi16EEviT3_ilPT2_i.uses_flat_scratch, 0
	.set _ZL40rocblas_copy_triangular_syrk_herk_kernelILb1ELb0ELb1E19rocblas_complex_numIdEPKPS1_Li16ELi16EEviT3_ilPT2_i.has_dyn_sized_stack, 0
	.set _ZL40rocblas_copy_triangular_syrk_herk_kernelILb1ELb0ELb1E19rocblas_complex_numIdEPKPS1_Li16ELi16EEviT3_ilPT2_i.has_recursion, 0
	.set _ZL40rocblas_copy_triangular_syrk_herk_kernelILb1ELb0ELb1E19rocblas_complex_numIdEPKPS1_Li16ELi16EEviT3_ilPT2_i.has_indirect_call, 0
	.section	.AMDGPU.csdata,"",@progbits
; Kernel info:
; codeLenInByte = 528
; TotalNumSgprs: 22
; NumVgprs: 14
; ScratchSize: 0
; MemoryBound: 0
; FloatMode: 240
; IeeeMode: 1
; LDSByteSize: 0 bytes/workgroup (compile time only)
; SGPRBlocks: 0
; VGPRBlocks: 0
; NumSGPRsForWavesPerEU: 22
; NumVGPRsForWavesPerEU: 14
; NamedBarCnt: 0
; Occupancy: 16
; WaveLimiterHint : 0
; COMPUTE_PGM_RSRC2:SCRATCH_EN: 0
; COMPUTE_PGM_RSRC2:USER_SGPR: 2
; COMPUTE_PGM_RSRC2:TRAP_HANDLER: 0
; COMPUTE_PGM_RSRC2:TGID_X_EN: 1
; COMPUTE_PGM_RSRC2:TGID_Y_EN: 1
; COMPUTE_PGM_RSRC2:TGID_Z_EN: 1
; COMPUTE_PGM_RSRC2:TIDIG_COMP_CNT: 1
	.section	.text._ZL40rocblas_copy_triangular_syrk_herk_kernelILb0ELb1ELb1E19rocblas_complex_numIdEPKPS1_Li16ELi16EEviT3_ilPT2_i,"axG",@progbits,_ZL40rocblas_copy_triangular_syrk_herk_kernelILb0ELb1ELb1E19rocblas_complex_numIdEPKPS1_Li16ELi16EEviT3_ilPT2_i,comdat
	.globl	_ZL40rocblas_copy_triangular_syrk_herk_kernelILb0ELb1ELb1E19rocblas_complex_numIdEPKPS1_Li16ELi16EEviT3_ilPT2_i ; -- Begin function _ZL40rocblas_copy_triangular_syrk_herk_kernelILb0ELb1ELb1E19rocblas_complex_numIdEPKPS1_Li16ELi16EEviT3_ilPT2_i
	.p2align	8
	.type	_ZL40rocblas_copy_triangular_syrk_herk_kernelILb0ELb1ELb1E19rocblas_complex_numIdEPKPS1_Li16ELi16EEviT3_ilPT2_i,@function
_ZL40rocblas_copy_triangular_syrk_herk_kernelILb0ELb1ELb1E19rocblas_complex_numIdEPKPS1_Li16ELi16EEviT3_ilPT2_i: ; @_ZL40rocblas_copy_triangular_syrk_herk_kernelILb0ELb1ELb1E19rocblas_complex_numIdEPKPS1_Li16ELi16EEviT3_ilPT2_i
; %bb.0:
	s_load_b32 s3, s[0:1], 0x28
	s_bfe_u32 s2, ttmp6, 0x40014
	s_lshr_b32 s4, ttmp7, 16
	s_add_co_i32 s2, s2, 1
	s_bfe_u32 s6, ttmp6, 0x40008
	s_mul_i32 s5, s4, s2
	s_getreg_b32 s2, hwreg(HW_REG_IB_STS2, 6, 4)
	s_add_co_i32 s6, s6, s5
	s_cmp_eq_u32 s2, 0
	s_mov_b32 s9, 0
	s_cselect_b32 s8, s4, s6
	s_wait_kmcnt 0x0
	s_cmp_ge_u32 s8, s3
	s_cbranch_scc1 .LBB46_7
; %bb.1:
	s_clause 0x3
	s_load_b32 s14, s[0:1], 0x0
	s_load_b96 s[4:6], s[0:1], 0x8
	s_load_b32 s7, s[0:1], 0x3c
	s_load_b64 s[10:11], s[0:1], 0x20
	s_wait_xcnt 0x0
	s_bfe_u32 s0, ttmp6, 0x40010
	s_and_b32 s16, ttmp7, 0xffff
	s_add_co_i32 s0, s0, 1
	s_bfe_u32 s12, ttmp6, 0x40004
	s_bfe_u32 s13, ttmp6, 0x4000c
	s_mul_i32 s0, s16, s0
	s_add_co_i32 s13, s13, 1
	s_add_co_i32 s19, s12, s0
	s_mul_i32 s18, ttmp9, s13
	s_mov_b32 s1, s9
	s_and_b32 s17, ttmp6, 15
	v_bfe_u32 v1, v0, 10, 10
	s_add_co_i32 s18, s17, s18
	v_and_b32_e32 v2, 0x3ff, v0
	s_wait_kmcnt 0x0
	s_add_co_i32 s12, s14, -1
	s_ashr_i32 s15, s14, 31
	s_ashr_i32 s13, s12, 31
	;; [unrolled: 1-line block ×3, first 2 shown]
	s_mul_u64 s[12:13], s[12:13], s[14:15]
	s_lshr_b32 s15, s7, 16
	s_lshr_b32 s0, s13, 31
	s_and_b32 s7, s7, 0xffff
	s_add_nc_u64 s[0:1], s[12:13], s[0:1]
	s_delay_alu instid0(SALU_CYCLE_1)
	s_ashr_i64 s[12:13], s[0:1], 1
	s_cmp_eq_u32 s2, 0
	s_cselect_b32 s0, s16, s19
	s_mov_b32 s16, s6
	v_mad_u32 v0, s0, s15, v1
	s_cselect_b32 s0, ttmp9, s18
	s_delay_alu instid0(SALU_CYCLE_1) | instskip(NEXT) | instid1(VALU_DEP_2)
	v_mad_u32 v8, s0, s7, v2
	v_add_nc_u32_e32 v1, -1, v0
	v_cmp_gt_i32_e32 vcc_lo, s14, v0
	s_delay_alu instid0(VALU_DEP_3) | instskip(SKIP_1) | instid1(VALU_DEP_4)
	v_cmp_gt_i32_e64 s0, s14, v8
	v_cmp_gt_i32_e64 s1, v0, v8
	v_mul_lo_u32 v1, v1, v0
	v_ashrrev_i32_e32 v9, 31, v8
	v_cmp_eq_u32_e64 s2, v0, v8
	s_and_b32 s0, s0, vcc_lo
	s_delay_alu instid0(SALU_CYCLE_1) | instskip(SKIP_3) | instid1(VALU_DEP_2)
	s_and_b32 s0, s0, s1
	s_and_b32 s1, vcc_lo, s2
	v_lshrrev_b32_e32 v4, 31, v1
	v_mul_u64_e32 v[2:3], s[16:17], v[8:9]
	v_add_nc_u32_e32 v4, v1, v4
	v_ashrrev_i32_e32 v1, 31, v0
	s_delay_alu instid0(VALU_DEP_2) | instskip(NEXT) | instid1(VALU_DEP_2)
	v_ashrrev_i32_e32 v6, 1, v4
	v_mad_nc_i64_i32 v[4:5], v0, s6, v[0:1]
	s_delay_alu instid0(VALU_DEP_2) | instskip(SKIP_1) | instid1(VALU_DEP_2)
	v_add_nc_u32_e32 v6, v6, v8
	v_mov_b64_e32 v[8:9], 0
	v_ashrrev_i32_e32 v7, 31, v6
	s_branch .LBB46_3
.LBB46_2:                               ;   in Loop: Header=BB46_3 Depth=1
	s_wait_xcnt 0x0
	s_or_b32 exec_lo, exec_lo, s2
	s_add_co_i32 s8, s8, 0x10000
	s_delay_alu instid0(SALU_CYCLE_1)
	s_cmp_lt_u32 s8, s3
	s_cbranch_scc0 .LBB46_7
.LBB46_3:                               ; =>This Inner Loop Header: Depth=1
	s_wait_loadcnt 0x0
	v_mov_b32_e32 v10, s8
	s_mul_u64 s[6:7], s[12:13], s[8:9]
	s_delay_alu instid0(SALU_CYCLE_1) | instskip(NEXT) | instid1(SALU_CYCLE_1)
	s_lshl_b64 s[6:7], s[6:7], 4
	s_add_nc_u64 s[10:11], s[10:11], s[6:7]
	global_load_b64 v[10:11], v10, s[4:5] scale_offset
	s_wait_xcnt 0x0
	s_and_saveexec_b32 s2, s0
	s_cbranch_execnz .LBB46_5
; %bb.4:                                ;   in Loop: Header=BB46_3 Depth=1
	s_or_b32 exec_lo, exec_lo, s2
	s_and_saveexec_b32 s2, s1
	s_cbranch_execz .LBB46_2
	s_branch .LBB46_6
.LBB46_5:                               ;   in Loop: Header=BB46_3 Depth=1
	v_lshl_add_u64 v[12:13], v[6:7], 4, s[10:11]
	s_wait_loadcnt 0x0
	v_lshl_add_u64 v[16:17], v[2:3], 4, v[10:11]
	global_load_b128 v[12:15], v[12:13], off
	v_lshl_add_u64 v[16:17], v[0:1], 4, v[16:17]
	s_wait_loadcnt 0x0
	flat_store_b128 v[16:17], v[12:15]
	s_wait_xcnt 0x0
	s_or_b32 exec_lo, exec_lo, s2
	s_and_saveexec_b32 s2, s1
	s_cbranch_execz .LBB46_2
.LBB46_6:                               ;   in Loop: Header=BB46_3 Depth=1
	s_wait_loadcnt 0x0
	v_lshl_add_u64 v[10:11], v[4:5], 4, v[10:11]
	flat_store_b64 v[10:11], v[8:9] offset:8
	s_branch .LBB46_2
.LBB46_7:
	s_endpgm
	.section	.rodata,"a",@progbits
	.p2align	6, 0x0
	.amdhsa_kernel _ZL40rocblas_copy_triangular_syrk_herk_kernelILb0ELb1ELb1E19rocblas_complex_numIdEPKPS1_Li16ELi16EEviT3_ilPT2_i
		.amdhsa_group_segment_fixed_size 0
		.amdhsa_private_segment_fixed_size 0
		.amdhsa_kernarg_size 304
		.amdhsa_user_sgpr_count 2
		.amdhsa_user_sgpr_dispatch_ptr 0
		.amdhsa_user_sgpr_queue_ptr 0
		.amdhsa_user_sgpr_kernarg_segment_ptr 1
		.amdhsa_user_sgpr_dispatch_id 0
		.amdhsa_user_sgpr_kernarg_preload_length 0
		.amdhsa_user_sgpr_kernarg_preload_offset 0
		.amdhsa_user_sgpr_private_segment_size 0
		.amdhsa_wavefront_size32 1
		.amdhsa_uses_dynamic_stack 0
		.amdhsa_enable_private_segment 0
		.amdhsa_system_sgpr_workgroup_id_x 1
		.amdhsa_system_sgpr_workgroup_id_y 1
		.amdhsa_system_sgpr_workgroup_id_z 1
		.amdhsa_system_sgpr_workgroup_info 0
		.amdhsa_system_vgpr_workitem_id 1
		.amdhsa_next_free_vgpr 18
		.amdhsa_next_free_sgpr 20
		.amdhsa_named_barrier_count 0
		.amdhsa_reserve_vcc 1
		.amdhsa_float_round_mode_32 0
		.amdhsa_float_round_mode_16_64 0
		.amdhsa_float_denorm_mode_32 3
		.amdhsa_float_denorm_mode_16_64 3
		.amdhsa_fp16_overflow 0
		.amdhsa_memory_ordered 1
		.amdhsa_forward_progress 1
		.amdhsa_inst_pref_size 5
		.amdhsa_round_robin_scheduling 0
		.amdhsa_exception_fp_ieee_invalid_op 0
		.amdhsa_exception_fp_denorm_src 0
		.amdhsa_exception_fp_ieee_div_zero 0
		.amdhsa_exception_fp_ieee_overflow 0
		.amdhsa_exception_fp_ieee_underflow 0
		.amdhsa_exception_fp_ieee_inexact 0
		.amdhsa_exception_int_div_zero 0
	.end_amdhsa_kernel
	.section	.text._ZL40rocblas_copy_triangular_syrk_herk_kernelILb0ELb1ELb1E19rocblas_complex_numIdEPKPS1_Li16ELi16EEviT3_ilPT2_i,"axG",@progbits,_ZL40rocblas_copy_triangular_syrk_herk_kernelILb0ELb1ELb1E19rocblas_complex_numIdEPKPS1_Li16ELi16EEviT3_ilPT2_i,comdat
.Lfunc_end46:
	.size	_ZL40rocblas_copy_triangular_syrk_herk_kernelILb0ELb1ELb1E19rocblas_complex_numIdEPKPS1_Li16ELi16EEviT3_ilPT2_i, .Lfunc_end46-_ZL40rocblas_copy_triangular_syrk_herk_kernelILb0ELb1ELb1E19rocblas_complex_numIdEPKPS1_Li16ELi16EEviT3_ilPT2_i
                                        ; -- End function
	.set _ZL40rocblas_copy_triangular_syrk_herk_kernelILb0ELb1ELb1E19rocblas_complex_numIdEPKPS1_Li16ELi16EEviT3_ilPT2_i.num_vgpr, 18
	.set _ZL40rocblas_copy_triangular_syrk_herk_kernelILb0ELb1ELb1E19rocblas_complex_numIdEPKPS1_Li16ELi16EEviT3_ilPT2_i.num_agpr, 0
	.set _ZL40rocblas_copy_triangular_syrk_herk_kernelILb0ELb1ELb1E19rocblas_complex_numIdEPKPS1_Li16ELi16EEviT3_ilPT2_i.numbered_sgpr, 20
	.set _ZL40rocblas_copy_triangular_syrk_herk_kernelILb0ELb1ELb1E19rocblas_complex_numIdEPKPS1_Li16ELi16EEviT3_ilPT2_i.num_named_barrier, 0
	.set _ZL40rocblas_copy_triangular_syrk_herk_kernelILb0ELb1ELb1E19rocblas_complex_numIdEPKPS1_Li16ELi16EEviT3_ilPT2_i.private_seg_size, 0
	.set _ZL40rocblas_copy_triangular_syrk_herk_kernelILb0ELb1ELb1E19rocblas_complex_numIdEPKPS1_Li16ELi16EEviT3_ilPT2_i.uses_vcc, 1
	.set _ZL40rocblas_copy_triangular_syrk_herk_kernelILb0ELb1ELb1E19rocblas_complex_numIdEPKPS1_Li16ELi16EEviT3_ilPT2_i.uses_flat_scratch, 0
	.set _ZL40rocblas_copy_triangular_syrk_herk_kernelILb0ELb1ELb1E19rocblas_complex_numIdEPKPS1_Li16ELi16EEviT3_ilPT2_i.has_dyn_sized_stack, 0
	.set _ZL40rocblas_copy_triangular_syrk_herk_kernelILb0ELb1ELb1E19rocblas_complex_numIdEPKPS1_Li16ELi16EEviT3_ilPT2_i.has_recursion, 0
	.set _ZL40rocblas_copy_triangular_syrk_herk_kernelILb0ELb1ELb1E19rocblas_complex_numIdEPKPS1_Li16ELi16EEviT3_ilPT2_i.has_indirect_call, 0
	.section	.AMDGPU.csdata,"",@progbits
; Kernel info:
; codeLenInByte = 588
; TotalNumSgprs: 22
; NumVgprs: 18
; ScratchSize: 0
; MemoryBound: 0
; FloatMode: 240
; IeeeMode: 1
; LDSByteSize: 0 bytes/workgroup (compile time only)
; SGPRBlocks: 0
; VGPRBlocks: 1
; NumSGPRsForWavesPerEU: 22
; NumVGPRsForWavesPerEU: 18
; NamedBarCnt: 0
; Occupancy: 16
; WaveLimiterHint : 1
; COMPUTE_PGM_RSRC2:SCRATCH_EN: 0
; COMPUTE_PGM_RSRC2:USER_SGPR: 2
; COMPUTE_PGM_RSRC2:TRAP_HANDLER: 0
; COMPUTE_PGM_RSRC2:TGID_X_EN: 1
; COMPUTE_PGM_RSRC2:TGID_Y_EN: 1
; COMPUTE_PGM_RSRC2:TGID_Z_EN: 1
; COMPUTE_PGM_RSRC2:TIDIG_COMP_CNT: 1
	.section	.text._ZL40rocblas_copy_triangular_syrk_herk_kernelILb0ELb0ELb1E19rocblas_complex_numIdEPKPS1_Li16ELi16EEviT3_ilPT2_i,"axG",@progbits,_ZL40rocblas_copy_triangular_syrk_herk_kernelILb0ELb0ELb1E19rocblas_complex_numIdEPKPS1_Li16ELi16EEviT3_ilPT2_i,comdat
	.globl	_ZL40rocblas_copy_triangular_syrk_herk_kernelILb0ELb0ELb1E19rocblas_complex_numIdEPKPS1_Li16ELi16EEviT3_ilPT2_i ; -- Begin function _ZL40rocblas_copy_triangular_syrk_herk_kernelILb0ELb0ELb1E19rocblas_complex_numIdEPKPS1_Li16ELi16EEviT3_ilPT2_i
	.p2align	8
	.type	_ZL40rocblas_copy_triangular_syrk_herk_kernelILb0ELb0ELb1E19rocblas_complex_numIdEPKPS1_Li16ELi16EEviT3_ilPT2_i,@function
_ZL40rocblas_copy_triangular_syrk_herk_kernelILb0ELb0ELb1E19rocblas_complex_numIdEPKPS1_Li16ELi16EEviT3_ilPT2_i: ; @_ZL40rocblas_copy_triangular_syrk_herk_kernelILb0ELb0ELb1E19rocblas_complex_numIdEPKPS1_Li16ELi16EEviT3_ilPT2_i
; %bb.0:
	s_load_b32 s3, s[0:1], 0x28
	s_bfe_u32 s2, ttmp6, 0x40014
	s_lshr_b32 s4, ttmp7, 16
	s_add_co_i32 s2, s2, 1
	s_bfe_u32 s6, ttmp6, 0x40008
	s_mul_i32 s5, s4, s2
	s_getreg_b32 s2, hwreg(HW_REG_IB_STS2, 6, 4)
	s_add_co_i32 s6, s6, s5
	s_cmp_eq_u32 s2, 0
	s_mov_b32 s9, 0
	s_cselect_b32 s8, s4, s6
	s_wait_kmcnt 0x0
	s_cmp_ge_u32 s8, s3
	s_cbranch_scc1 .LBB47_7
; %bb.1:
	s_clause 0x3
	s_load_b32 s14, s[0:1], 0x0
	s_load_b96 s[4:6], s[0:1], 0x8
	s_load_b32 s7, s[0:1], 0x3c
	s_load_b64 s[10:11], s[0:1], 0x20
	s_wait_xcnt 0x0
	s_bfe_u32 s0, ttmp6, 0x40010
	s_and_b32 s16, ttmp7, 0xffff
	s_add_co_i32 s0, s0, 1
	s_bfe_u32 s12, ttmp6, 0x40004
	s_bfe_u32 s13, ttmp6, 0x4000c
	s_mul_i32 s0, s16, s0
	s_add_co_i32 s13, s13, 1
	s_add_co_i32 s19, s12, s0
	s_mul_i32 s18, ttmp9, s13
	s_mov_b32 s1, s9
	s_and_b32 s17, ttmp6, 15
	v_bfe_u32 v1, v0, 10, 10
	s_add_co_i32 s18, s17, s18
	v_and_b32_e32 v0, 0x3ff, v0
	s_wait_kmcnt 0x0
	s_add_co_i32 s12, s14, -1
	s_ashr_i32 s15, s14, 31
	s_ashr_i32 s13, s12, 31
	;; [unrolled: 1-line block ×3, first 2 shown]
	s_mul_u64 s[12:13], s[12:13], s[14:15]
	s_lshr_b32 s15, s7, 16
	s_lshr_b32 s0, s13, 31
	s_and_b32 s7, s7, 0xffff
	s_add_nc_u64 s[0:1], s[12:13], s[0:1]
	s_delay_alu instid0(SALU_CYCLE_1)
	s_ashr_i64 s[12:13], s[0:1], 1
	s_cmp_eq_u32 s2, 0
	s_cselect_b32 s0, s16, s19
	s_mov_b32 s16, s6
	v_mad_u32 v2, s0, s15, v1
	s_cselect_b32 s0, ttmp9, s18
	s_delay_alu instid0(SALU_CYCLE_1) | instskip(NEXT) | instid1(VALU_DEP_2)
	v_mad_u32 v8, s0, s7, v0
	v_not_b32_e32 v6, v2
	v_cmp_gt_i32_e32 vcc_lo, s14, v2
	s_delay_alu instid0(VALU_DEP_3) | instskip(SKIP_1) | instid1(VALU_DEP_4)
	v_cmp_gt_i32_e64 s0, s14, v8
	v_cmp_lt_i32_e64 s1, v2, v8
	v_lshl_add_u32 v0, s14, 1, v6
	v_cmp_eq_u32_e64 s2, v2, v8
	s_and_b32 s0, s0, s1
	v_mul_lo_u32 v3, v0, v2
	v_ashrrev_i32_e32 v9, 31, v8
	s_and_b32 s1, vcc_lo, s2
	s_delay_alu instid0(VALU_DEP_2) | instskip(NEXT) | instid1(VALU_DEP_2)
	v_lshrrev_b32_e32 v4, 31, v3
	v_mul_u64_e32 v[0:1], s[16:17], v[8:9]
	s_delay_alu instid0(VALU_DEP_2) | instskip(NEXT) | instid1(VALU_DEP_1)
	v_dual_add_nc_u32 v4, v3, v4 :: v_dual_ashrrev_i32 v3, 31, v2
	v_ashrrev_i32_e32 v7, 1, v4
	s_delay_alu instid0(VALU_DEP_2) | instskip(NEXT) | instid1(VALU_DEP_2)
	v_mad_nc_i64_i32 v[4:5], v2, s6, v[2:3]
	v_add3_u32 v6, v8, v6, v7
	v_mov_b64_e32 v[8:9], 0
	s_delay_alu instid0(VALU_DEP_2)
	v_ashrrev_i32_e32 v7, 31, v6
	s_branch .LBB47_3
.LBB47_2:                               ;   in Loop: Header=BB47_3 Depth=1
	s_wait_xcnt 0x0
	s_or_b32 exec_lo, exec_lo, s2
	s_add_co_i32 s8, s8, 0x10000
	s_delay_alu instid0(SALU_CYCLE_1)
	s_cmp_lt_u32 s8, s3
	s_cbranch_scc0 .LBB47_7
.LBB47_3:                               ; =>This Inner Loop Header: Depth=1
	s_wait_loadcnt 0x0
	v_mov_b32_e32 v10, s8
	s_mul_u64 s[6:7], s[12:13], s[8:9]
	s_delay_alu instid0(SALU_CYCLE_1) | instskip(NEXT) | instid1(SALU_CYCLE_1)
	s_lshl_b64 s[6:7], s[6:7], 4
	s_add_nc_u64 s[10:11], s[10:11], s[6:7]
	global_load_b64 v[10:11], v10, s[4:5] scale_offset
	s_wait_xcnt 0x0
	s_and_saveexec_b32 s2, s0
	s_cbranch_execnz .LBB47_5
; %bb.4:                                ;   in Loop: Header=BB47_3 Depth=1
	s_or_b32 exec_lo, exec_lo, s2
	s_and_saveexec_b32 s2, s1
	s_cbranch_execz .LBB47_2
	s_branch .LBB47_6
.LBB47_5:                               ;   in Loop: Header=BB47_3 Depth=1
	v_lshl_add_u64 v[12:13], v[6:7], 4, s[10:11]
	s_wait_loadcnt 0x0
	v_lshl_add_u64 v[16:17], v[0:1], 4, v[10:11]
	global_load_b128 v[12:15], v[12:13], off
	v_lshl_add_u64 v[16:17], v[2:3], 4, v[16:17]
	s_wait_loadcnt 0x0
	flat_store_b128 v[16:17], v[12:15]
	s_wait_xcnt 0x0
	s_or_b32 exec_lo, exec_lo, s2
	s_and_saveexec_b32 s2, s1
	s_cbranch_execz .LBB47_2
.LBB47_6:                               ;   in Loop: Header=BB47_3 Depth=1
	s_wait_loadcnt 0x0
	v_lshl_add_u64 v[10:11], v[4:5], 4, v[10:11]
	flat_store_b64 v[10:11], v[8:9] offset:8
	s_branch .LBB47_2
.LBB47_7:
	s_endpgm
	.section	.rodata,"a",@progbits
	.p2align	6, 0x0
	.amdhsa_kernel _ZL40rocblas_copy_triangular_syrk_herk_kernelILb0ELb0ELb1E19rocblas_complex_numIdEPKPS1_Li16ELi16EEviT3_ilPT2_i
		.amdhsa_group_segment_fixed_size 0
		.amdhsa_private_segment_fixed_size 0
		.amdhsa_kernarg_size 304
		.amdhsa_user_sgpr_count 2
		.amdhsa_user_sgpr_dispatch_ptr 0
		.amdhsa_user_sgpr_queue_ptr 0
		.amdhsa_user_sgpr_kernarg_segment_ptr 1
		.amdhsa_user_sgpr_dispatch_id 0
		.amdhsa_user_sgpr_kernarg_preload_length 0
		.amdhsa_user_sgpr_kernarg_preload_offset 0
		.amdhsa_user_sgpr_private_segment_size 0
		.amdhsa_wavefront_size32 1
		.amdhsa_uses_dynamic_stack 0
		.amdhsa_enable_private_segment 0
		.amdhsa_system_sgpr_workgroup_id_x 1
		.amdhsa_system_sgpr_workgroup_id_y 1
		.amdhsa_system_sgpr_workgroup_id_z 1
		.amdhsa_system_sgpr_workgroup_info 0
		.amdhsa_system_vgpr_workitem_id 1
		.amdhsa_next_free_vgpr 18
		.amdhsa_next_free_sgpr 20
		.amdhsa_named_barrier_count 0
		.amdhsa_reserve_vcc 1
		.amdhsa_float_round_mode_32 0
		.amdhsa_float_round_mode_16_64 0
		.amdhsa_float_denorm_mode_32 3
		.amdhsa_float_denorm_mode_16_64 3
		.amdhsa_fp16_overflow 0
		.amdhsa_memory_ordered 1
		.amdhsa_forward_progress 1
		.amdhsa_inst_pref_size 5
		.amdhsa_round_robin_scheduling 0
		.amdhsa_exception_fp_ieee_invalid_op 0
		.amdhsa_exception_fp_denorm_src 0
		.amdhsa_exception_fp_ieee_div_zero 0
		.amdhsa_exception_fp_ieee_overflow 0
		.amdhsa_exception_fp_ieee_underflow 0
		.amdhsa_exception_fp_ieee_inexact 0
		.amdhsa_exception_int_div_zero 0
	.end_amdhsa_kernel
	.section	.text._ZL40rocblas_copy_triangular_syrk_herk_kernelILb0ELb0ELb1E19rocblas_complex_numIdEPKPS1_Li16ELi16EEviT3_ilPT2_i,"axG",@progbits,_ZL40rocblas_copy_triangular_syrk_herk_kernelILb0ELb0ELb1E19rocblas_complex_numIdEPKPS1_Li16ELi16EEviT3_ilPT2_i,comdat
.Lfunc_end47:
	.size	_ZL40rocblas_copy_triangular_syrk_herk_kernelILb0ELb0ELb1E19rocblas_complex_numIdEPKPS1_Li16ELi16EEviT3_ilPT2_i, .Lfunc_end47-_ZL40rocblas_copy_triangular_syrk_herk_kernelILb0ELb0ELb1E19rocblas_complex_numIdEPKPS1_Li16ELi16EEviT3_ilPT2_i
                                        ; -- End function
	.set _ZL40rocblas_copy_triangular_syrk_herk_kernelILb0ELb0ELb1E19rocblas_complex_numIdEPKPS1_Li16ELi16EEviT3_ilPT2_i.num_vgpr, 18
	.set _ZL40rocblas_copy_triangular_syrk_herk_kernelILb0ELb0ELb1E19rocblas_complex_numIdEPKPS1_Li16ELi16EEviT3_ilPT2_i.num_agpr, 0
	.set _ZL40rocblas_copy_triangular_syrk_herk_kernelILb0ELb0ELb1E19rocblas_complex_numIdEPKPS1_Li16ELi16EEviT3_ilPT2_i.numbered_sgpr, 20
	.set _ZL40rocblas_copy_triangular_syrk_herk_kernelILb0ELb0ELb1E19rocblas_complex_numIdEPKPS1_Li16ELi16EEviT3_ilPT2_i.num_named_barrier, 0
	.set _ZL40rocblas_copy_triangular_syrk_herk_kernelILb0ELb0ELb1E19rocblas_complex_numIdEPKPS1_Li16ELi16EEviT3_ilPT2_i.private_seg_size, 0
	.set _ZL40rocblas_copy_triangular_syrk_herk_kernelILb0ELb0ELb1E19rocblas_complex_numIdEPKPS1_Li16ELi16EEviT3_ilPT2_i.uses_vcc, 1
	.set _ZL40rocblas_copy_triangular_syrk_herk_kernelILb0ELb0ELb1E19rocblas_complex_numIdEPKPS1_Li16ELi16EEviT3_ilPT2_i.uses_flat_scratch, 0
	.set _ZL40rocblas_copy_triangular_syrk_herk_kernelILb0ELb0ELb1E19rocblas_complex_numIdEPKPS1_Li16ELi16EEviT3_ilPT2_i.has_dyn_sized_stack, 0
	.set _ZL40rocblas_copy_triangular_syrk_herk_kernelILb0ELb0ELb1E19rocblas_complex_numIdEPKPS1_Li16ELi16EEviT3_ilPT2_i.has_recursion, 0
	.set _ZL40rocblas_copy_triangular_syrk_herk_kernelILb0ELb0ELb1E19rocblas_complex_numIdEPKPS1_Li16ELi16EEviT3_ilPT2_i.has_indirect_call, 0
	.section	.AMDGPU.csdata,"",@progbits
; Kernel info:
; codeLenInByte = 604
; TotalNumSgprs: 22
; NumVgprs: 18
; ScratchSize: 0
; MemoryBound: 0
; FloatMode: 240
; IeeeMode: 1
; LDSByteSize: 0 bytes/workgroup (compile time only)
; SGPRBlocks: 0
; VGPRBlocks: 1
; NumSGPRsForWavesPerEU: 22
; NumVGPRsForWavesPerEU: 18
; NamedBarCnt: 0
; Occupancy: 16
; WaveLimiterHint : 1
; COMPUTE_PGM_RSRC2:SCRATCH_EN: 0
; COMPUTE_PGM_RSRC2:USER_SGPR: 2
; COMPUTE_PGM_RSRC2:TRAP_HANDLER: 0
; COMPUTE_PGM_RSRC2:TGID_X_EN: 1
; COMPUTE_PGM_RSRC2:TGID_Y_EN: 1
; COMPUTE_PGM_RSRC2:TGID_Z_EN: 1
; COMPUTE_PGM_RSRC2:TIDIG_COMP_CNT: 1
	.section	.AMDGPU.gpr_maximums,"",@progbits
	.set amdgpu.max_num_vgpr, 0
	.set amdgpu.max_num_agpr, 0
	.set amdgpu.max_num_sgpr, 0
	.section	.AMDGPU.csdata,"",@progbits
	.type	__hip_cuid_99faba8149a9449b,@object ; @__hip_cuid_99faba8149a9449b
	.section	.bss,"aw",@nobits
	.globl	__hip_cuid_99faba8149a9449b
__hip_cuid_99faba8149a9449b:
	.byte	0                               ; 0x0
	.size	__hip_cuid_99faba8149a9449b, 1

	.ident	"AMD clang version 22.0.0git (https://github.com/RadeonOpenCompute/llvm-project roc-7.2.4 26084 f58b06dce1f9c15707c5f808fd002e18c2accf7e)"
	.section	".note.GNU-stack","",@progbits
	.addrsig
	.addrsig_sym __hip_cuid_99faba8149a9449b
	.amdgpu_metadata
---
amdhsa.kernels:
  - .args:
      - .offset:         0
        .size:           4
        .value_kind:     by_value
      - .address_space:  global
        .offset:         8
        .size:           8
        .value_kind:     global_buffer
      - .offset:         16
        .size:           4
        .value_kind:     by_value
      - .offset:         24
        .size:           8
        .value_kind:     by_value
      - .address_space:  global
        .offset:         32
        .size:           8
        .value_kind:     global_buffer
      - .offset:         40
        .size:           4
        .value_kind:     by_value
      - .offset:         48
        .size:           4
        .value_kind:     hidden_block_count_x
      - .offset:         52
        .size:           4
        .value_kind:     hidden_block_count_y
      - .offset:         56
        .size:           4
        .value_kind:     hidden_block_count_z
      - .offset:         60
        .size:           2
        .value_kind:     hidden_group_size_x
      - .offset:         62
        .size:           2
        .value_kind:     hidden_group_size_y
      - .offset:         64
        .size:           2
        .value_kind:     hidden_group_size_z
      - .offset:         66
        .size:           2
        .value_kind:     hidden_remainder_x
      - .offset:         68
        .size:           2
        .value_kind:     hidden_remainder_y
      - .offset:         70
        .size:           2
        .value_kind:     hidden_remainder_z
      - .offset:         88
        .size:           8
        .value_kind:     hidden_global_offset_x
      - .offset:         96
        .size:           8
        .value_kind:     hidden_global_offset_y
      - .offset:         104
        .size:           8
        .value_kind:     hidden_global_offset_z
      - .offset:         112
        .size:           2
        .value_kind:     hidden_grid_dims
    .group_segment_fixed_size: 0
    .kernarg_segment_align: 8
    .kernarg_segment_size: 304
    .language:       OpenCL C
    .language_version:
      - 2
      - 0
    .max_flat_workgroup_size: 256
    .name:           _ZL40rocblas_copy_triangular_syrk_herk_kernelILb1ELb1ELb0EfPfLi16ELi16EEviT3_ilPT2_i
    .private_segment_fixed_size: 0
    .sgpr_count:     23
    .sgpr_spill_count: 0
    .symbol:         _ZL40rocblas_copy_triangular_syrk_herk_kernelILb1ELb1ELb0EfPfLi16ELi16EEviT3_ilPT2_i.kd
    .uniform_work_group_size: 1
    .uses_dynamic_stack: false
    .vgpr_count:     9
    .vgpr_spill_count: 0
    .wavefront_size: 32
  - .args:
      - .offset:         0
        .size:           4
        .value_kind:     by_value
      - .address_space:  global
        .offset:         8
        .size:           8
        .value_kind:     global_buffer
      - .offset:         16
        .size:           4
        .value_kind:     by_value
      - .offset:         24
        .size:           8
        .value_kind:     by_value
      - .address_space:  global
        .offset:         32
        .size:           8
        .value_kind:     global_buffer
      - .offset:         40
        .size:           4
        .value_kind:     by_value
      - .offset:         48
        .size:           4
        .value_kind:     hidden_block_count_x
      - .offset:         52
        .size:           4
        .value_kind:     hidden_block_count_y
      - .offset:         56
        .size:           4
        .value_kind:     hidden_block_count_z
      - .offset:         60
        .size:           2
        .value_kind:     hidden_group_size_x
      - .offset:         62
        .size:           2
        .value_kind:     hidden_group_size_y
      - .offset:         64
        .size:           2
        .value_kind:     hidden_group_size_z
      - .offset:         66
        .size:           2
        .value_kind:     hidden_remainder_x
      - .offset:         68
        .size:           2
        .value_kind:     hidden_remainder_y
      - .offset:         70
        .size:           2
        .value_kind:     hidden_remainder_z
      - .offset:         88
        .size:           8
        .value_kind:     hidden_global_offset_x
      - .offset:         96
        .size:           8
        .value_kind:     hidden_global_offset_y
      - .offset:         104
        .size:           8
        .value_kind:     hidden_global_offset_z
      - .offset:         112
        .size:           2
        .value_kind:     hidden_grid_dims
    .group_segment_fixed_size: 0
    .kernarg_segment_align: 8
    .kernarg_segment_size: 304
    .language:       OpenCL C
    .language_version:
      - 2
      - 0
    .max_flat_workgroup_size: 256
    .name:           _ZL40rocblas_copy_triangular_syrk_herk_kernelILb1ELb0ELb0EfPfLi16ELi16EEviT3_ilPT2_i
    .private_segment_fixed_size: 0
    .sgpr_count:     23
    .sgpr_spill_count: 0
    .symbol:         _ZL40rocblas_copy_triangular_syrk_herk_kernelILb1ELb0ELb0EfPfLi16ELi16EEviT3_ilPT2_i.kd
    .uniform_work_group_size: 1
    .uses_dynamic_stack: false
    .vgpr_count:     10
    .vgpr_spill_count: 0
    .wavefront_size: 32
  - .args:
      - .offset:         0
        .size:           4
        .value_kind:     by_value
      - .address_space:  global
        .offset:         8
        .size:           8
        .value_kind:     global_buffer
      - .offset:         16
        .size:           4
        .value_kind:     by_value
      - .offset:         24
        .size:           8
        .value_kind:     by_value
      - .address_space:  global
        .offset:         32
        .size:           8
        .value_kind:     global_buffer
      - .offset:         40
        .size:           4
        .value_kind:     by_value
      - .offset:         48
        .size:           4
        .value_kind:     hidden_block_count_x
      - .offset:         52
        .size:           4
        .value_kind:     hidden_block_count_y
      - .offset:         56
        .size:           4
        .value_kind:     hidden_block_count_z
      - .offset:         60
        .size:           2
        .value_kind:     hidden_group_size_x
      - .offset:         62
        .size:           2
        .value_kind:     hidden_group_size_y
      - .offset:         64
        .size:           2
        .value_kind:     hidden_group_size_z
      - .offset:         66
        .size:           2
        .value_kind:     hidden_remainder_x
      - .offset:         68
        .size:           2
        .value_kind:     hidden_remainder_y
      - .offset:         70
        .size:           2
        .value_kind:     hidden_remainder_z
      - .offset:         88
        .size:           8
        .value_kind:     hidden_global_offset_x
      - .offset:         96
        .size:           8
        .value_kind:     hidden_global_offset_y
      - .offset:         104
        .size:           8
        .value_kind:     hidden_global_offset_z
      - .offset:         112
        .size:           2
        .value_kind:     hidden_grid_dims
    .group_segment_fixed_size: 0
    .kernarg_segment_align: 8
    .kernarg_segment_size: 304
    .language:       OpenCL C
    .language_version:
      - 2
      - 0
    .max_flat_workgroup_size: 256
    .name:           _ZL40rocblas_copy_triangular_syrk_herk_kernelILb0ELb1ELb0EfPfLi16ELi16EEviT3_ilPT2_i
    .private_segment_fixed_size: 0
    .sgpr_count:     23
    .sgpr_spill_count: 0
    .symbol:         _ZL40rocblas_copy_triangular_syrk_herk_kernelILb0ELb1ELb0EfPfLi16ELi16EEviT3_ilPT2_i.kd
    .uniform_work_group_size: 1
    .uses_dynamic_stack: false
    .vgpr_count:     8
    .vgpr_spill_count: 0
    .wavefront_size: 32
  - .args:
      - .offset:         0
        .size:           4
        .value_kind:     by_value
      - .address_space:  global
        .offset:         8
        .size:           8
        .value_kind:     global_buffer
      - .offset:         16
        .size:           4
        .value_kind:     by_value
      - .offset:         24
        .size:           8
        .value_kind:     by_value
      - .address_space:  global
        .offset:         32
        .size:           8
        .value_kind:     global_buffer
      - .offset:         40
        .size:           4
        .value_kind:     by_value
      - .offset:         48
        .size:           4
        .value_kind:     hidden_block_count_x
      - .offset:         52
        .size:           4
        .value_kind:     hidden_block_count_y
      - .offset:         56
        .size:           4
        .value_kind:     hidden_block_count_z
      - .offset:         60
        .size:           2
        .value_kind:     hidden_group_size_x
      - .offset:         62
        .size:           2
        .value_kind:     hidden_group_size_y
      - .offset:         64
        .size:           2
        .value_kind:     hidden_group_size_z
      - .offset:         66
        .size:           2
        .value_kind:     hidden_remainder_x
      - .offset:         68
        .size:           2
        .value_kind:     hidden_remainder_y
      - .offset:         70
        .size:           2
        .value_kind:     hidden_remainder_z
      - .offset:         88
        .size:           8
        .value_kind:     hidden_global_offset_x
      - .offset:         96
        .size:           8
        .value_kind:     hidden_global_offset_y
      - .offset:         104
        .size:           8
        .value_kind:     hidden_global_offset_z
      - .offset:         112
        .size:           2
        .value_kind:     hidden_grid_dims
    .group_segment_fixed_size: 0
    .kernarg_segment_align: 8
    .kernarg_segment_size: 304
    .language:       OpenCL C
    .language_version:
      - 2
      - 0
    .max_flat_workgroup_size: 256
    .name:           _ZL40rocblas_copy_triangular_syrk_herk_kernelILb0ELb0ELb0EfPfLi16ELi16EEviT3_ilPT2_i
    .private_segment_fixed_size: 0
    .sgpr_count:     23
    .sgpr_spill_count: 0
    .symbol:         _ZL40rocblas_copy_triangular_syrk_herk_kernelILb0ELb0ELb0EfPfLi16ELi16EEviT3_ilPT2_i.kd
    .uniform_work_group_size: 1
    .uses_dynamic_stack: false
    .vgpr_count:     8
    .vgpr_spill_count: 0
    .wavefront_size: 32
  - .args:
      - .offset:         0
        .size:           4
        .value_kind:     by_value
      - .address_space:  global
        .offset:         8
        .size:           8
        .value_kind:     global_buffer
      - .offset:         16
        .size:           4
        .value_kind:     by_value
      - .offset:         24
        .size:           8
        .value_kind:     by_value
      - .address_space:  global
        .offset:         32
        .size:           8
        .value_kind:     global_buffer
      - .offset:         40
        .size:           4
        .value_kind:     by_value
      - .offset:         48
        .size:           4
        .value_kind:     hidden_block_count_x
      - .offset:         52
        .size:           4
        .value_kind:     hidden_block_count_y
      - .offset:         56
        .size:           4
        .value_kind:     hidden_block_count_z
      - .offset:         60
        .size:           2
        .value_kind:     hidden_group_size_x
      - .offset:         62
        .size:           2
        .value_kind:     hidden_group_size_y
      - .offset:         64
        .size:           2
        .value_kind:     hidden_group_size_z
      - .offset:         66
        .size:           2
        .value_kind:     hidden_remainder_x
      - .offset:         68
        .size:           2
        .value_kind:     hidden_remainder_y
      - .offset:         70
        .size:           2
        .value_kind:     hidden_remainder_z
      - .offset:         88
        .size:           8
        .value_kind:     hidden_global_offset_x
      - .offset:         96
        .size:           8
        .value_kind:     hidden_global_offset_y
      - .offset:         104
        .size:           8
        .value_kind:     hidden_global_offset_z
      - .offset:         112
        .size:           2
        .value_kind:     hidden_grid_dims
    .group_segment_fixed_size: 0
    .kernarg_segment_align: 8
    .kernarg_segment_size: 304
    .language:       OpenCL C
    .language_version:
      - 2
      - 0
    .max_flat_workgroup_size: 256
    .name:           _ZL40rocblas_copy_triangular_syrk_herk_kernelILb1ELb1ELb0EdPdLi16ELi16EEviT3_ilPT2_i
    .private_segment_fixed_size: 0
    .sgpr_count:     23
    .sgpr_spill_count: 0
    .symbol:         _ZL40rocblas_copy_triangular_syrk_herk_kernelILb1ELb1ELb0EdPdLi16ELi16EEviT3_ilPT2_i.kd
    .uniform_work_group_size: 1
    .uses_dynamic_stack: false
    .vgpr_count:     9
    .vgpr_spill_count: 0
    .wavefront_size: 32
  - .args:
      - .offset:         0
        .size:           4
        .value_kind:     by_value
      - .address_space:  global
        .offset:         8
        .size:           8
        .value_kind:     global_buffer
      - .offset:         16
        .size:           4
        .value_kind:     by_value
      - .offset:         24
        .size:           8
        .value_kind:     by_value
      - .address_space:  global
        .offset:         32
        .size:           8
        .value_kind:     global_buffer
      - .offset:         40
        .size:           4
        .value_kind:     by_value
      - .offset:         48
        .size:           4
        .value_kind:     hidden_block_count_x
      - .offset:         52
        .size:           4
        .value_kind:     hidden_block_count_y
      - .offset:         56
        .size:           4
        .value_kind:     hidden_block_count_z
      - .offset:         60
        .size:           2
        .value_kind:     hidden_group_size_x
      - .offset:         62
        .size:           2
        .value_kind:     hidden_group_size_y
      - .offset:         64
        .size:           2
        .value_kind:     hidden_group_size_z
      - .offset:         66
        .size:           2
        .value_kind:     hidden_remainder_x
      - .offset:         68
        .size:           2
        .value_kind:     hidden_remainder_y
      - .offset:         70
        .size:           2
        .value_kind:     hidden_remainder_z
      - .offset:         88
        .size:           8
        .value_kind:     hidden_global_offset_x
      - .offset:         96
        .size:           8
        .value_kind:     hidden_global_offset_y
      - .offset:         104
        .size:           8
        .value_kind:     hidden_global_offset_z
      - .offset:         112
        .size:           2
        .value_kind:     hidden_grid_dims
    .group_segment_fixed_size: 0
    .kernarg_segment_align: 8
    .kernarg_segment_size: 304
    .language:       OpenCL C
    .language_version:
      - 2
      - 0
    .max_flat_workgroup_size: 256
    .name:           _ZL40rocblas_copy_triangular_syrk_herk_kernelILb1ELb0ELb0EdPdLi16ELi16EEviT3_ilPT2_i
    .private_segment_fixed_size: 0
    .sgpr_count:     23
    .sgpr_spill_count: 0
    .symbol:         _ZL40rocblas_copy_triangular_syrk_herk_kernelILb1ELb0ELb0EdPdLi16ELi16EEviT3_ilPT2_i.kd
    .uniform_work_group_size: 1
    .uses_dynamic_stack: false
    .vgpr_count:     10
    .vgpr_spill_count: 0
    .wavefront_size: 32
  - .args:
      - .offset:         0
        .size:           4
        .value_kind:     by_value
      - .address_space:  global
        .offset:         8
        .size:           8
        .value_kind:     global_buffer
      - .offset:         16
        .size:           4
        .value_kind:     by_value
      - .offset:         24
        .size:           8
        .value_kind:     by_value
      - .address_space:  global
        .offset:         32
        .size:           8
        .value_kind:     global_buffer
      - .offset:         40
        .size:           4
        .value_kind:     by_value
      - .offset:         48
        .size:           4
        .value_kind:     hidden_block_count_x
      - .offset:         52
        .size:           4
        .value_kind:     hidden_block_count_y
      - .offset:         56
        .size:           4
        .value_kind:     hidden_block_count_z
      - .offset:         60
        .size:           2
        .value_kind:     hidden_group_size_x
      - .offset:         62
        .size:           2
        .value_kind:     hidden_group_size_y
      - .offset:         64
        .size:           2
        .value_kind:     hidden_group_size_z
      - .offset:         66
        .size:           2
        .value_kind:     hidden_remainder_x
      - .offset:         68
        .size:           2
        .value_kind:     hidden_remainder_y
      - .offset:         70
        .size:           2
        .value_kind:     hidden_remainder_z
      - .offset:         88
        .size:           8
        .value_kind:     hidden_global_offset_x
      - .offset:         96
        .size:           8
        .value_kind:     hidden_global_offset_y
      - .offset:         104
        .size:           8
        .value_kind:     hidden_global_offset_z
      - .offset:         112
        .size:           2
        .value_kind:     hidden_grid_dims
    .group_segment_fixed_size: 0
    .kernarg_segment_align: 8
    .kernarg_segment_size: 304
    .language:       OpenCL C
    .language_version:
      - 2
      - 0
    .max_flat_workgroup_size: 256
    .name:           _ZL40rocblas_copy_triangular_syrk_herk_kernelILb0ELb1ELb0EdPdLi16ELi16EEviT3_ilPT2_i
    .private_segment_fixed_size: 0
    .sgpr_count:     23
    .sgpr_spill_count: 0
    .symbol:         _ZL40rocblas_copy_triangular_syrk_herk_kernelILb0ELb1ELb0EdPdLi16ELi16EEviT3_ilPT2_i.kd
    .uniform_work_group_size: 1
    .uses_dynamic_stack: false
    .vgpr_count:     8
    .vgpr_spill_count: 0
    .wavefront_size: 32
  - .args:
      - .offset:         0
        .size:           4
        .value_kind:     by_value
      - .address_space:  global
        .offset:         8
        .size:           8
        .value_kind:     global_buffer
      - .offset:         16
        .size:           4
        .value_kind:     by_value
      - .offset:         24
        .size:           8
        .value_kind:     by_value
      - .address_space:  global
        .offset:         32
        .size:           8
        .value_kind:     global_buffer
      - .offset:         40
        .size:           4
        .value_kind:     by_value
      - .offset:         48
        .size:           4
        .value_kind:     hidden_block_count_x
      - .offset:         52
        .size:           4
        .value_kind:     hidden_block_count_y
      - .offset:         56
        .size:           4
        .value_kind:     hidden_block_count_z
      - .offset:         60
        .size:           2
        .value_kind:     hidden_group_size_x
      - .offset:         62
        .size:           2
        .value_kind:     hidden_group_size_y
      - .offset:         64
        .size:           2
        .value_kind:     hidden_group_size_z
      - .offset:         66
        .size:           2
        .value_kind:     hidden_remainder_x
      - .offset:         68
        .size:           2
        .value_kind:     hidden_remainder_y
      - .offset:         70
        .size:           2
        .value_kind:     hidden_remainder_z
      - .offset:         88
        .size:           8
        .value_kind:     hidden_global_offset_x
      - .offset:         96
        .size:           8
        .value_kind:     hidden_global_offset_y
      - .offset:         104
        .size:           8
        .value_kind:     hidden_global_offset_z
      - .offset:         112
        .size:           2
        .value_kind:     hidden_grid_dims
    .group_segment_fixed_size: 0
    .kernarg_segment_align: 8
    .kernarg_segment_size: 304
    .language:       OpenCL C
    .language_version:
      - 2
      - 0
    .max_flat_workgroup_size: 256
    .name:           _ZL40rocblas_copy_triangular_syrk_herk_kernelILb0ELb0ELb0EdPdLi16ELi16EEviT3_ilPT2_i
    .private_segment_fixed_size: 0
    .sgpr_count:     23
    .sgpr_spill_count: 0
    .symbol:         _ZL40rocblas_copy_triangular_syrk_herk_kernelILb0ELb0ELb0EdPdLi16ELi16EEviT3_ilPT2_i.kd
    .uniform_work_group_size: 1
    .uses_dynamic_stack: false
    .vgpr_count:     8
    .vgpr_spill_count: 0
    .wavefront_size: 32
  - .args:
      - .offset:         0
        .size:           4
        .value_kind:     by_value
      - .address_space:  global
        .offset:         8
        .size:           8
        .value_kind:     global_buffer
      - .offset:         16
        .size:           4
        .value_kind:     by_value
      - .offset:         24
        .size:           8
        .value_kind:     by_value
      - .address_space:  global
        .offset:         32
        .size:           8
        .value_kind:     global_buffer
      - .offset:         40
        .size:           4
        .value_kind:     by_value
      - .offset:         48
        .size:           4
        .value_kind:     hidden_block_count_x
      - .offset:         52
        .size:           4
        .value_kind:     hidden_block_count_y
      - .offset:         56
        .size:           4
        .value_kind:     hidden_block_count_z
      - .offset:         60
        .size:           2
        .value_kind:     hidden_group_size_x
      - .offset:         62
        .size:           2
        .value_kind:     hidden_group_size_y
      - .offset:         64
        .size:           2
        .value_kind:     hidden_group_size_z
      - .offset:         66
        .size:           2
        .value_kind:     hidden_remainder_x
      - .offset:         68
        .size:           2
        .value_kind:     hidden_remainder_y
      - .offset:         70
        .size:           2
        .value_kind:     hidden_remainder_z
      - .offset:         88
        .size:           8
        .value_kind:     hidden_global_offset_x
      - .offset:         96
        .size:           8
        .value_kind:     hidden_global_offset_y
      - .offset:         104
        .size:           8
        .value_kind:     hidden_global_offset_z
      - .offset:         112
        .size:           2
        .value_kind:     hidden_grid_dims
    .group_segment_fixed_size: 0
    .kernarg_segment_align: 8
    .kernarg_segment_size: 304
    .language:       OpenCL C
    .language_version:
      - 2
      - 0
    .max_flat_workgroup_size: 256
    .name:           _ZL40rocblas_copy_triangular_syrk_herk_kernelILb1ELb1ELb0E19rocblas_complex_numIfEPS1_Li16ELi16EEviT3_ilPT2_i
    .private_segment_fixed_size: 0
    .sgpr_count:     23
    .sgpr_spill_count: 0
    .symbol:         _ZL40rocblas_copy_triangular_syrk_herk_kernelILb1ELb1ELb0E19rocblas_complex_numIfEPS1_Li16ELi16EEviT3_ilPT2_i.kd
    .uniform_work_group_size: 1
    .uses_dynamic_stack: false
    .vgpr_count:     9
    .vgpr_spill_count: 0
    .wavefront_size: 32
  - .args:
      - .offset:         0
        .size:           4
        .value_kind:     by_value
      - .address_space:  global
        .offset:         8
        .size:           8
        .value_kind:     global_buffer
      - .offset:         16
        .size:           4
        .value_kind:     by_value
      - .offset:         24
        .size:           8
        .value_kind:     by_value
      - .address_space:  global
        .offset:         32
        .size:           8
        .value_kind:     global_buffer
      - .offset:         40
        .size:           4
        .value_kind:     by_value
      - .offset:         48
        .size:           4
        .value_kind:     hidden_block_count_x
      - .offset:         52
        .size:           4
        .value_kind:     hidden_block_count_y
      - .offset:         56
        .size:           4
        .value_kind:     hidden_block_count_z
      - .offset:         60
        .size:           2
        .value_kind:     hidden_group_size_x
      - .offset:         62
        .size:           2
        .value_kind:     hidden_group_size_y
      - .offset:         64
        .size:           2
        .value_kind:     hidden_group_size_z
      - .offset:         66
        .size:           2
        .value_kind:     hidden_remainder_x
      - .offset:         68
        .size:           2
        .value_kind:     hidden_remainder_y
      - .offset:         70
        .size:           2
        .value_kind:     hidden_remainder_z
      - .offset:         88
        .size:           8
        .value_kind:     hidden_global_offset_x
      - .offset:         96
        .size:           8
        .value_kind:     hidden_global_offset_y
      - .offset:         104
        .size:           8
        .value_kind:     hidden_global_offset_z
      - .offset:         112
        .size:           2
        .value_kind:     hidden_grid_dims
    .group_segment_fixed_size: 0
    .kernarg_segment_align: 8
    .kernarg_segment_size: 304
    .language:       OpenCL C
    .language_version:
      - 2
      - 0
    .max_flat_workgroup_size: 256
    .name:           _ZL40rocblas_copy_triangular_syrk_herk_kernelILb1ELb0ELb0E19rocblas_complex_numIfEPS1_Li16ELi16EEviT3_ilPT2_i
    .private_segment_fixed_size: 0
    .sgpr_count:     23
    .sgpr_spill_count: 0
    .symbol:         _ZL40rocblas_copy_triangular_syrk_herk_kernelILb1ELb0ELb0E19rocblas_complex_numIfEPS1_Li16ELi16EEviT3_ilPT2_i.kd
    .uniform_work_group_size: 1
    .uses_dynamic_stack: false
    .vgpr_count:     10
    .vgpr_spill_count: 0
    .wavefront_size: 32
  - .args:
      - .offset:         0
        .size:           4
        .value_kind:     by_value
      - .address_space:  global
        .offset:         8
        .size:           8
        .value_kind:     global_buffer
      - .offset:         16
        .size:           4
        .value_kind:     by_value
      - .offset:         24
        .size:           8
        .value_kind:     by_value
      - .address_space:  global
        .offset:         32
        .size:           8
        .value_kind:     global_buffer
      - .offset:         40
        .size:           4
        .value_kind:     by_value
      - .offset:         48
        .size:           4
        .value_kind:     hidden_block_count_x
      - .offset:         52
        .size:           4
        .value_kind:     hidden_block_count_y
      - .offset:         56
        .size:           4
        .value_kind:     hidden_block_count_z
      - .offset:         60
        .size:           2
        .value_kind:     hidden_group_size_x
      - .offset:         62
        .size:           2
        .value_kind:     hidden_group_size_y
      - .offset:         64
        .size:           2
        .value_kind:     hidden_group_size_z
      - .offset:         66
        .size:           2
        .value_kind:     hidden_remainder_x
      - .offset:         68
        .size:           2
        .value_kind:     hidden_remainder_y
      - .offset:         70
        .size:           2
        .value_kind:     hidden_remainder_z
      - .offset:         88
        .size:           8
        .value_kind:     hidden_global_offset_x
      - .offset:         96
        .size:           8
        .value_kind:     hidden_global_offset_y
      - .offset:         104
        .size:           8
        .value_kind:     hidden_global_offset_z
      - .offset:         112
        .size:           2
        .value_kind:     hidden_grid_dims
    .group_segment_fixed_size: 0
    .kernarg_segment_align: 8
    .kernarg_segment_size: 304
    .language:       OpenCL C
    .language_version:
      - 2
      - 0
    .max_flat_workgroup_size: 256
    .name:           _ZL40rocblas_copy_triangular_syrk_herk_kernelILb0ELb1ELb0E19rocblas_complex_numIfEPS1_Li16ELi16EEviT3_ilPT2_i
    .private_segment_fixed_size: 0
    .sgpr_count:     23
    .sgpr_spill_count: 0
    .symbol:         _ZL40rocblas_copy_triangular_syrk_herk_kernelILb0ELb1ELb0E19rocblas_complex_numIfEPS1_Li16ELi16EEviT3_ilPT2_i.kd
    .uniform_work_group_size: 1
    .uses_dynamic_stack: false
    .vgpr_count:     8
    .vgpr_spill_count: 0
    .wavefront_size: 32
  - .args:
      - .offset:         0
        .size:           4
        .value_kind:     by_value
      - .address_space:  global
        .offset:         8
        .size:           8
        .value_kind:     global_buffer
      - .offset:         16
        .size:           4
        .value_kind:     by_value
      - .offset:         24
        .size:           8
        .value_kind:     by_value
      - .address_space:  global
        .offset:         32
        .size:           8
        .value_kind:     global_buffer
      - .offset:         40
        .size:           4
        .value_kind:     by_value
      - .offset:         48
        .size:           4
        .value_kind:     hidden_block_count_x
      - .offset:         52
        .size:           4
        .value_kind:     hidden_block_count_y
      - .offset:         56
        .size:           4
        .value_kind:     hidden_block_count_z
      - .offset:         60
        .size:           2
        .value_kind:     hidden_group_size_x
      - .offset:         62
        .size:           2
        .value_kind:     hidden_group_size_y
      - .offset:         64
        .size:           2
        .value_kind:     hidden_group_size_z
      - .offset:         66
        .size:           2
        .value_kind:     hidden_remainder_x
      - .offset:         68
        .size:           2
        .value_kind:     hidden_remainder_y
      - .offset:         70
        .size:           2
        .value_kind:     hidden_remainder_z
      - .offset:         88
        .size:           8
        .value_kind:     hidden_global_offset_x
      - .offset:         96
        .size:           8
        .value_kind:     hidden_global_offset_y
      - .offset:         104
        .size:           8
        .value_kind:     hidden_global_offset_z
      - .offset:         112
        .size:           2
        .value_kind:     hidden_grid_dims
    .group_segment_fixed_size: 0
    .kernarg_segment_align: 8
    .kernarg_segment_size: 304
    .language:       OpenCL C
    .language_version:
      - 2
      - 0
    .max_flat_workgroup_size: 256
    .name:           _ZL40rocblas_copy_triangular_syrk_herk_kernelILb0ELb0ELb0E19rocblas_complex_numIfEPS1_Li16ELi16EEviT3_ilPT2_i
    .private_segment_fixed_size: 0
    .sgpr_count:     23
    .sgpr_spill_count: 0
    .symbol:         _ZL40rocblas_copy_triangular_syrk_herk_kernelILb0ELb0ELb0E19rocblas_complex_numIfEPS1_Li16ELi16EEviT3_ilPT2_i.kd
    .uniform_work_group_size: 1
    .uses_dynamic_stack: false
    .vgpr_count:     8
    .vgpr_spill_count: 0
    .wavefront_size: 32
  - .args:
      - .offset:         0
        .size:           4
        .value_kind:     by_value
      - .address_space:  global
        .offset:         8
        .size:           8
        .value_kind:     global_buffer
      - .offset:         16
        .size:           4
        .value_kind:     by_value
      - .offset:         24
        .size:           8
        .value_kind:     by_value
      - .address_space:  global
        .offset:         32
        .size:           8
        .value_kind:     global_buffer
      - .offset:         40
        .size:           4
        .value_kind:     by_value
      - .offset:         48
        .size:           4
        .value_kind:     hidden_block_count_x
      - .offset:         52
        .size:           4
        .value_kind:     hidden_block_count_y
      - .offset:         56
        .size:           4
        .value_kind:     hidden_block_count_z
      - .offset:         60
        .size:           2
        .value_kind:     hidden_group_size_x
      - .offset:         62
        .size:           2
        .value_kind:     hidden_group_size_y
      - .offset:         64
        .size:           2
        .value_kind:     hidden_group_size_z
      - .offset:         66
        .size:           2
        .value_kind:     hidden_remainder_x
      - .offset:         68
        .size:           2
        .value_kind:     hidden_remainder_y
      - .offset:         70
        .size:           2
        .value_kind:     hidden_remainder_z
      - .offset:         88
        .size:           8
        .value_kind:     hidden_global_offset_x
      - .offset:         96
        .size:           8
        .value_kind:     hidden_global_offset_y
      - .offset:         104
        .size:           8
        .value_kind:     hidden_global_offset_z
      - .offset:         112
        .size:           2
        .value_kind:     hidden_grid_dims
    .group_segment_fixed_size: 0
    .kernarg_segment_align: 8
    .kernarg_segment_size: 304
    .language:       OpenCL C
    .language_version:
      - 2
      - 0
    .max_flat_workgroup_size: 256
    .name:           _ZL40rocblas_copy_triangular_syrk_herk_kernelILb1ELb1ELb0E19rocblas_complex_numIdEPS1_Li16ELi16EEviT3_ilPT2_i
    .private_segment_fixed_size: 0
    .sgpr_count:     23
    .sgpr_spill_count: 0
    .symbol:         _ZL40rocblas_copy_triangular_syrk_herk_kernelILb1ELb1ELb0E19rocblas_complex_numIdEPS1_Li16ELi16EEviT3_ilPT2_i.kd
    .uniform_work_group_size: 1
    .uses_dynamic_stack: false
    .vgpr_count:     10
    .vgpr_spill_count: 0
    .wavefront_size: 32
  - .args:
      - .offset:         0
        .size:           4
        .value_kind:     by_value
      - .address_space:  global
        .offset:         8
        .size:           8
        .value_kind:     global_buffer
      - .offset:         16
        .size:           4
        .value_kind:     by_value
      - .offset:         24
        .size:           8
        .value_kind:     by_value
      - .address_space:  global
        .offset:         32
        .size:           8
        .value_kind:     global_buffer
      - .offset:         40
        .size:           4
        .value_kind:     by_value
      - .offset:         48
        .size:           4
        .value_kind:     hidden_block_count_x
      - .offset:         52
        .size:           4
        .value_kind:     hidden_block_count_y
      - .offset:         56
        .size:           4
        .value_kind:     hidden_block_count_z
      - .offset:         60
        .size:           2
        .value_kind:     hidden_group_size_x
      - .offset:         62
        .size:           2
        .value_kind:     hidden_group_size_y
      - .offset:         64
        .size:           2
        .value_kind:     hidden_group_size_z
      - .offset:         66
        .size:           2
        .value_kind:     hidden_remainder_x
      - .offset:         68
        .size:           2
        .value_kind:     hidden_remainder_y
      - .offset:         70
        .size:           2
        .value_kind:     hidden_remainder_z
      - .offset:         88
        .size:           8
        .value_kind:     hidden_global_offset_x
      - .offset:         96
        .size:           8
        .value_kind:     hidden_global_offset_y
      - .offset:         104
        .size:           8
        .value_kind:     hidden_global_offset_z
      - .offset:         112
        .size:           2
        .value_kind:     hidden_grid_dims
    .group_segment_fixed_size: 0
    .kernarg_segment_align: 8
    .kernarg_segment_size: 304
    .language:       OpenCL C
    .language_version:
      - 2
      - 0
    .max_flat_workgroup_size: 256
    .name:           _ZL40rocblas_copy_triangular_syrk_herk_kernelILb1ELb0ELb0E19rocblas_complex_numIdEPS1_Li16ELi16EEviT3_ilPT2_i
    .private_segment_fixed_size: 0
    .sgpr_count:     23
    .sgpr_spill_count: 0
    .symbol:         _ZL40rocblas_copy_triangular_syrk_herk_kernelILb1ELb0ELb0E19rocblas_complex_numIdEPS1_Li16ELi16EEviT3_ilPT2_i.kd
    .uniform_work_group_size: 1
    .uses_dynamic_stack: false
    .vgpr_count:     10
    .vgpr_spill_count: 0
    .wavefront_size: 32
  - .args:
      - .offset:         0
        .size:           4
        .value_kind:     by_value
      - .address_space:  global
        .offset:         8
        .size:           8
        .value_kind:     global_buffer
      - .offset:         16
        .size:           4
        .value_kind:     by_value
      - .offset:         24
        .size:           8
        .value_kind:     by_value
      - .address_space:  global
        .offset:         32
        .size:           8
        .value_kind:     global_buffer
      - .offset:         40
        .size:           4
        .value_kind:     by_value
      - .offset:         48
        .size:           4
        .value_kind:     hidden_block_count_x
      - .offset:         52
        .size:           4
        .value_kind:     hidden_block_count_y
      - .offset:         56
        .size:           4
        .value_kind:     hidden_block_count_z
      - .offset:         60
        .size:           2
        .value_kind:     hidden_group_size_x
      - .offset:         62
        .size:           2
        .value_kind:     hidden_group_size_y
      - .offset:         64
        .size:           2
        .value_kind:     hidden_group_size_z
      - .offset:         66
        .size:           2
        .value_kind:     hidden_remainder_x
      - .offset:         68
        .size:           2
        .value_kind:     hidden_remainder_y
      - .offset:         70
        .size:           2
        .value_kind:     hidden_remainder_z
      - .offset:         88
        .size:           8
        .value_kind:     hidden_global_offset_x
      - .offset:         96
        .size:           8
        .value_kind:     hidden_global_offset_y
      - .offset:         104
        .size:           8
        .value_kind:     hidden_global_offset_z
      - .offset:         112
        .size:           2
        .value_kind:     hidden_grid_dims
    .group_segment_fixed_size: 0
    .kernarg_segment_align: 8
    .kernarg_segment_size: 304
    .language:       OpenCL C
    .language_version:
      - 2
      - 0
    .max_flat_workgroup_size: 256
    .name:           _ZL40rocblas_copy_triangular_syrk_herk_kernelILb0ELb1ELb0E19rocblas_complex_numIdEPS1_Li16ELi16EEviT3_ilPT2_i
    .private_segment_fixed_size: 0
    .sgpr_count:     23
    .sgpr_spill_count: 0
    .symbol:         _ZL40rocblas_copy_triangular_syrk_herk_kernelILb0ELb1ELb0E19rocblas_complex_numIdEPS1_Li16ELi16EEviT3_ilPT2_i.kd
    .uniform_work_group_size: 1
    .uses_dynamic_stack: false
    .vgpr_count:     10
    .vgpr_spill_count: 0
    .wavefront_size: 32
  - .args:
      - .offset:         0
        .size:           4
        .value_kind:     by_value
      - .address_space:  global
        .offset:         8
        .size:           8
        .value_kind:     global_buffer
      - .offset:         16
        .size:           4
        .value_kind:     by_value
      - .offset:         24
        .size:           8
        .value_kind:     by_value
      - .address_space:  global
        .offset:         32
        .size:           8
        .value_kind:     global_buffer
      - .offset:         40
        .size:           4
        .value_kind:     by_value
      - .offset:         48
        .size:           4
        .value_kind:     hidden_block_count_x
      - .offset:         52
        .size:           4
        .value_kind:     hidden_block_count_y
      - .offset:         56
        .size:           4
        .value_kind:     hidden_block_count_z
      - .offset:         60
        .size:           2
        .value_kind:     hidden_group_size_x
      - .offset:         62
        .size:           2
        .value_kind:     hidden_group_size_y
      - .offset:         64
        .size:           2
        .value_kind:     hidden_group_size_z
      - .offset:         66
        .size:           2
        .value_kind:     hidden_remainder_x
      - .offset:         68
        .size:           2
        .value_kind:     hidden_remainder_y
      - .offset:         70
        .size:           2
        .value_kind:     hidden_remainder_z
      - .offset:         88
        .size:           8
        .value_kind:     hidden_global_offset_x
      - .offset:         96
        .size:           8
        .value_kind:     hidden_global_offset_y
      - .offset:         104
        .size:           8
        .value_kind:     hidden_global_offset_z
      - .offset:         112
        .size:           2
        .value_kind:     hidden_grid_dims
    .group_segment_fixed_size: 0
    .kernarg_segment_align: 8
    .kernarg_segment_size: 304
    .language:       OpenCL C
    .language_version:
      - 2
      - 0
    .max_flat_workgroup_size: 256
    .name:           _ZL40rocblas_copy_triangular_syrk_herk_kernelILb0ELb0ELb0E19rocblas_complex_numIdEPS1_Li16ELi16EEviT3_ilPT2_i
    .private_segment_fixed_size: 0
    .sgpr_count:     23
    .sgpr_spill_count: 0
    .symbol:         _ZL40rocblas_copy_triangular_syrk_herk_kernelILb0ELb0ELb0E19rocblas_complex_numIdEPS1_Li16ELi16EEviT3_ilPT2_i.kd
    .uniform_work_group_size: 1
    .uses_dynamic_stack: false
    .vgpr_count:     10
    .vgpr_spill_count: 0
    .wavefront_size: 32
  - .args:
      - .offset:         0
        .size:           4
        .value_kind:     by_value
      - .address_space:  global
        .offset:         8
        .size:           8
        .value_kind:     global_buffer
      - .offset:         16
        .size:           4
        .value_kind:     by_value
      - .offset:         24
        .size:           8
        .value_kind:     by_value
      - .address_space:  global
        .offset:         32
        .size:           8
        .value_kind:     global_buffer
      - .offset:         40
        .size:           4
        .value_kind:     by_value
      - .offset:         48
        .size:           4
        .value_kind:     hidden_block_count_x
      - .offset:         52
        .size:           4
        .value_kind:     hidden_block_count_y
      - .offset:         56
        .size:           4
        .value_kind:     hidden_block_count_z
      - .offset:         60
        .size:           2
        .value_kind:     hidden_group_size_x
      - .offset:         62
        .size:           2
        .value_kind:     hidden_group_size_y
      - .offset:         64
        .size:           2
        .value_kind:     hidden_group_size_z
      - .offset:         66
        .size:           2
        .value_kind:     hidden_remainder_x
      - .offset:         68
        .size:           2
        .value_kind:     hidden_remainder_y
      - .offset:         70
        .size:           2
        .value_kind:     hidden_remainder_z
      - .offset:         88
        .size:           8
        .value_kind:     hidden_global_offset_x
      - .offset:         96
        .size:           8
        .value_kind:     hidden_global_offset_y
      - .offset:         104
        .size:           8
        .value_kind:     hidden_global_offset_z
      - .offset:         112
        .size:           2
        .value_kind:     hidden_grid_dims
    .group_segment_fixed_size: 0
    .kernarg_segment_align: 8
    .kernarg_segment_size: 304
    .language:       OpenCL C
    .language_version:
      - 2
      - 0
    .max_flat_workgroup_size: 256
    .name:           _ZL40rocblas_copy_triangular_syrk_herk_kernelILb1ELb1ELb0EfPKPfLi16ELi16EEviT3_ilPT2_i
    .private_segment_fixed_size: 0
    .sgpr_count:     22
    .sgpr_spill_count: 0
    .symbol:         _ZL40rocblas_copy_triangular_syrk_herk_kernelILb1ELb1ELb0EfPKPfLi16ELi16EEviT3_ilPT2_i.kd
    .uniform_work_group_size: 1
    .uses_dynamic_stack: false
    .vgpr_count:     9
    .vgpr_spill_count: 0
    .wavefront_size: 32
  - .args:
      - .offset:         0
        .size:           4
        .value_kind:     by_value
      - .address_space:  global
        .offset:         8
        .size:           8
        .value_kind:     global_buffer
      - .offset:         16
        .size:           4
        .value_kind:     by_value
      - .offset:         24
        .size:           8
        .value_kind:     by_value
      - .address_space:  global
        .offset:         32
        .size:           8
        .value_kind:     global_buffer
      - .offset:         40
        .size:           4
        .value_kind:     by_value
      - .offset:         48
        .size:           4
        .value_kind:     hidden_block_count_x
      - .offset:         52
        .size:           4
        .value_kind:     hidden_block_count_y
      - .offset:         56
        .size:           4
        .value_kind:     hidden_block_count_z
      - .offset:         60
        .size:           2
        .value_kind:     hidden_group_size_x
      - .offset:         62
        .size:           2
        .value_kind:     hidden_group_size_y
      - .offset:         64
        .size:           2
        .value_kind:     hidden_group_size_z
      - .offset:         66
        .size:           2
        .value_kind:     hidden_remainder_x
      - .offset:         68
        .size:           2
        .value_kind:     hidden_remainder_y
      - .offset:         70
        .size:           2
        .value_kind:     hidden_remainder_z
      - .offset:         88
        .size:           8
        .value_kind:     hidden_global_offset_x
      - .offset:         96
        .size:           8
        .value_kind:     hidden_global_offset_y
      - .offset:         104
        .size:           8
        .value_kind:     hidden_global_offset_z
      - .offset:         112
        .size:           2
        .value_kind:     hidden_grid_dims
    .group_segment_fixed_size: 0
    .kernarg_segment_align: 8
    .kernarg_segment_size: 304
    .language:       OpenCL C
    .language_version:
      - 2
      - 0
    .max_flat_workgroup_size: 256
    .name:           _ZL40rocblas_copy_triangular_syrk_herk_kernelILb1ELb0ELb0EfPKPfLi16ELi16EEviT3_ilPT2_i
    .private_segment_fixed_size: 0
    .sgpr_count:     22
    .sgpr_spill_count: 0
    .symbol:         _ZL40rocblas_copy_triangular_syrk_herk_kernelILb1ELb0ELb0EfPKPfLi16ELi16EEviT3_ilPT2_i.kd
    .uniform_work_group_size: 1
    .uses_dynamic_stack: false
    .vgpr_count:     9
    .vgpr_spill_count: 0
    .wavefront_size: 32
  - .args:
      - .offset:         0
        .size:           4
        .value_kind:     by_value
      - .address_space:  global
        .offset:         8
        .size:           8
        .value_kind:     global_buffer
      - .offset:         16
        .size:           4
        .value_kind:     by_value
      - .offset:         24
        .size:           8
        .value_kind:     by_value
      - .address_space:  global
        .offset:         32
        .size:           8
        .value_kind:     global_buffer
      - .offset:         40
        .size:           4
        .value_kind:     by_value
      - .offset:         48
        .size:           4
        .value_kind:     hidden_block_count_x
      - .offset:         52
        .size:           4
        .value_kind:     hidden_block_count_y
      - .offset:         56
        .size:           4
        .value_kind:     hidden_block_count_z
      - .offset:         60
        .size:           2
        .value_kind:     hidden_group_size_x
      - .offset:         62
        .size:           2
        .value_kind:     hidden_group_size_y
      - .offset:         64
        .size:           2
        .value_kind:     hidden_group_size_z
      - .offset:         66
        .size:           2
        .value_kind:     hidden_remainder_x
      - .offset:         68
        .size:           2
        .value_kind:     hidden_remainder_y
      - .offset:         70
        .size:           2
        .value_kind:     hidden_remainder_z
      - .offset:         88
        .size:           8
        .value_kind:     hidden_global_offset_x
      - .offset:         96
        .size:           8
        .value_kind:     hidden_global_offset_y
      - .offset:         104
        .size:           8
        .value_kind:     hidden_global_offset_z
      - .offset:         112
        .size:           2
        .value_kind:     hidden_grid_dims
    .group_segment_fixed_size: 0
    .kernarg_segment_align: 8
    .kernarg_segment_size: 304
    .language:       OpenCL C
    .language_version:
      - 2
      - 0
    .max_flat_workgroup_size: 256
    .name:           _ZL40rocblas_copy_triangular_syrk_herk_kernelILb0ELb1ELb0EfPKPfLi16ELi16EEviT3_ilPT2_i
    .private_segment_fixed_size: 0
    .sgpr_count:     22
    .sgpr_spill_count: 0
    .symbol:         _ZL40rocblas_copy_triangular_syrk_herk_kernelILb0ELb1ELb0EfPKPfLi16ELi16EEviT3_ilPT2_i.kd
    .uniform_work_group_size: 1
    .uses_dynamic_stack: false
    .vgpr_count:     9
    .vgpr_spill_count: 0
    .wavefront_size: 32
  - .args:
      - .offset:         0
        .size:           4
        .value_kind:     by_value
      - .address_space:  global
        .offset:         8
        .size:           8
        .value_kind:     global_buffer
      - .offset:         16
        .size:           4
        .value_kind:     by_value
      - .offset:         24
        .size:           8
        .value_kind:     by_value
      - .address_space:  global
        .offset:         32
        .size:           8
        .value_kind:     global_buffer
      - .offset:         40
        .size:           4
        .value_kind:     by_value
      - .offset:         48
        .size:           4
        .value_kind:     hidden_block_count_x
      - .offset:         52
        .size:           4
        .value_kind:     hidden_block_count_y
      - .offset:         56
        .size:           4
        .value_kind:     hidden_block_count_z
      - .offset:         60
        .size:           2
        .value_kind:     hidden_group_size_x
      - .offset:         62
        .size:           2
        .value_kind:     hidden_group_size_y
      - .offset:         64
        .size:           2
        .value_kind:     hidden_group_size_z
      - .offset:         66
        .size:           2
        .value_kind:     hidden_remainder_x
      - .offset:         68
        .size:           2
        .value_kind:     hidden_remainder_y
      - .offset:         70
        .size:           2
        .value_kind:     hidden_remainder_z
      - .offset:         88
        .size:           8
        .value_kind:     hidden_global_offset_x
      - .offset:         96
        .size:           8
        .value_kind:     hidden_global_offset_y
      - .offset:         104
        .size:           8
        .value_kind:     hidden_global_offset_z
      - .offset:         112
        .size:           2
        .value_kind:     hidden_grid_dims
    .group_segment_fixed_size: 0
    .kernarg_segment_align: 8
    .kernarg_segment_size: 304
    .language:       OpenCL C
    .language_version:
      - 2
      - 0
    .max_flat_workgroup_size: 256
    .name:           _ZL40rocblas_copy_triangular_syrk_herk_kernelILb0ELb0ELb0EfPKPfLi16ELi16EEviT3_ilPT2_i
    .private_segment_fixed_size: 0
    .sgpr_count:     22
    .sgpr_spill_count: 0
    .symbol:         _ZL40rocblas_copy_triangular_syrk_herk_kernelILb0ELb0ELb0EfPKPfLi16ELi16EEviT3_ilPT2_i.kd
    .uniform_work_group_size: 1
    .uses_dynamic_stack: false
    .vgpr_count:     9
    .vgpr_spill_count: 0
    .wavefront_size: 32
  - .args:
      - .offset:         0
        .size:           4
        .value_kind:     by_value
      - .address_space:  global
        .offset:         8
        .size:           8
        .value_kind:     global_buffer
      - .offset:         16
        .size:           4
        .value_kind:     by_value
      - .offset:         24
        .size:           8
        .value_kind:     by_value
      - .address_space:  global
        .offset:         32
        .size:           8
        .value_kind:     global_buffer
      - .offset:         40
        .size:           4
        .value_kind:     by_value
      - .offset:         48
        .size:           4
        .value_kind:     hidden_block_count_x
      - .offset:         52
        .size:           4
        .value_kind:     hidden_block_count_y
      - .offset:         56
        .size:           4
        .value_kind:     hidden_block_count_z
      - .offset:         60
        .size:           2
        .value_kind:     hidden_group_size_x
      - .offset:         62
        .size:           2
        .value_kind:     hidden_group_size_y
      - .offset:         64
        .size:           2
        .value_kind:     hidden_group_size_z
      - .offset:         66
        .size:           2
        .value_kind:     hidden_remainder_x
      - .offset:         68
        .size:           2
        .value_kind:     hidden_remainder_y
      - .offset:         70
        .size:           2
        .value_kind:     hidden_remainder_z
      - .offset:         88
        .size:           8
        .value_kind:     hidden_global_offset_x
      - .offset:         96
        .size:           8
        .value_kind:     hidden_global_offset_y
      - .offset:         104
        .size:           8
        .value_kind:     hidden_global_offset_z
      - .offset:         112
        .size:           2
        .value_kind:     hidden_grid_dims
    .group_segment_fixed_size: 0
    .kernarg_segment_align: 8
    .kernarg_segment_size: 304
    .language:       OpenCL C
    .language_version:
      - 2
      - 0
    .max_flat_workgroup_size: 256
    .name:           _ZL40rocblas_copy_triangular_syrk_herk_kernelILb1ELb1ELb0EdPKPdLi16ELi16EEviT3_ilPT2_i
    .private_segment_fixed_size: 0
    .sgpr_count:     22
    .sgpr_spill_count: 0
    .symbol:         _ZL40rocblas_copy_triangular_syrk_herk_kernelILb1ELb1ELb0EdPKPdLi16ELi16EEviT3_ilPT2_i.kd
    .uniform_work_group_size: 1
    .uses_dynamic_stack: false
    .vgpr_count:     10
    .vgpr_spill_count: 0
    .wavefront_size: 32
  - .args:
      - .offset:         0
        .size:           4
        .value_kind:     by_value
      - .address_space:  global
        .offset:         8
        .size:           8
        .value_kind:     global_buffer
      - .offset:         16
        .size:           4
        .value_kind:     by_value
      - .offset:         24
        .size:           8
        .value_kind:     by_value
      - .address_space:  global
        .offset:         32
        .size:           8
        .value_kind:     global_buffer
      - .offset:         40
        .size:           4
        .value_kind:     by_value
      - .offset:         48
        .size:           4
        .value_kind:     hidden_block_count_x
      - .offset:         52
        .size:           4
        .value_kind:     hidden_block_count_y
      - .offset:         56
        .size:           4
        .value_kind:     hidden_block_count_z
      - .offset:         60
        .size:           2
        .value_kind:     hidden_group_size_x
      - .offset:         62
        .size:           2
        .value_kind:     hidden_group_size_y
      - .offset:         64
        .size:           2
        .value_kind:     hidden_group_size_z
      - .offset:         66
        .size:           2
        .value_kind:     hidden_remainder_x
      - .offset:         68
        .size:           2
        .value_kind:     hidden_remainder_y
      - .offset:         70
        .size:           2
        .value_kind:     hidden_remainder_z
      - .offset:         88
        .size:           8
        .value_kind:     hidden_global_offset_x
      - .offset:         96
        .size:           8
        .value_kind:     hidden_global_offset_y
      - .offset:         104
        .size:           8
        .value_kind:     hidden_global_offset_z
      - .offset:         112
        .size:           2
        .value_kind:     hidden_grid_dims
    .group_segment_fixed_size: 0
    .kernarg_segment_align: 8
    .kernarg_segment_size: 304
    .language:       OpenCL C
    .language_version:
      - 2
      - 0
    .max_flat_workgroup_size: 256
    .name:           _ZL40rocblas_copy_triangular_syrk_herk_kernelILb1ELb0ELb0EdPKPdLi16ELi16EEviT3_ilPT2_i
    .private_segment_fixed_size: 0
    .sgpr_count:     22
    .sgpr_spill_count: 0
    .symbol:         _ZL40rocblas_copy_triangular_syrk_herk_kernelILb1ELb0ELb0EdPKPdLi16ELi16EEviT3_ilPT2_i.kd
    .uniform_work_group_size: 1
    .uses_dynamic_stack: false
    .vgpr_count:     10
    .vgpr_spill_count: 0
    .wavefront_size: 32
  - .args:
      - .offset:         0
        .size:           4
        .value_kind:     by_value
      - .address_space:  global
        .offset:         8
        .size:           8
        .value_kind:     global_buffer
      - .offset:         16
        .size:           4
        .value_kind:     by_value
      - .offset:         24
        .size:           8
        .value_kind:     by_value
      - .address_space:  global
        .offset:         32
        .size:           8
        .value_kind:     global_buffer
      - .offset:         40
        .size:           4
        .value_kind:     by_value
      - .offset:         48
        .size:           4
        .value_kind:     hidden_block_count_x
      - .offset:         52
        .size:           4
        .value_kind:     hidden_block_count_y
      - .offset:         56
        .size:           4
        .value_kind:     hidden_block_count_z
      - .offset:         60
        .size:           2
        .value_kind:     hidden_group_size_x
      - .offset:         62
        .size:           2
        .value_kind:     hidden_group_size_y
      - .offset:         64
        .size:           2
        .value_kind:     hidden_group_size_z
      - .offset:         66
        .size:           2
        .value_kind:     hidden_remainder_x
      - .offset:         68
        .size:           2
        .value_kind:     hidden_remainder_y
      - .offset:         70
        .size:           2
        .value_kind:     hidden_remainder_z
      - .offset:         88
        .size:           8
        .value_kind:     hidden_global_offset_x
      - .offset:         96
        .size:           8
        .value_kind:     hidden_global_offset_y
      - .offset:         104
        .size:           8
        .value_kind:     hidden_global_offset_z
      - .offset:         112
        .size:           2
        .value_kind:     hidden_grid_dims
    .group_segment_fixed_size: 0
    .kernarg_segment_align: 8
    .kernarg_segment_size: 304
    .language:       OpenCL C
    .language_version:
      - 2
      - 0
    .max_flat_workgroup_size: 256
    .name:           _ZL40rocblas_copy_triangular_syrk_herk_kernelILb0ELb1ELb0EdPKPdLi16ELi16EEviT3_ilPT2_i
    .private_segment_fixed_size: 0
    .sgpr_count:     22
    .sgpr_spill_count: 0
    .symbol:         _ZL40rocblas_copy_triangular_syrk_herk_kernelILb0ELb1ELb0EdPKPdLi16ELi16EEviT3_ilPT2_i.kd
    .uniform_work_group_size: 1
    .uses_dynamic_stack: false
    .vgpr_count:     10
    .vgpr_spill_count: 0
    .wavefront_size: 32
  - .args:
      - .offset:         0
        .size:           4
        .value_kind:     by_value
      - .address_space:  global
        .offset:         8
        .size:           8
        .value_kind:     global_buffer
      - .offset:         16
        .size:           4
        .value_kind:     by_value
      - .offset:         24
        .size:           8
        .value_kind:     by_value
      - .address_space:  global
        .offset:         32
        .size:           8
        .value_kind:     global_buffer
      - .offset:         40
        .size:           4
        .value_kind:     by_value
      - .offset:         48
        .size:           4
        .value_kind:     hidden_block_count_x
      - .offset:         52
        .size:           4
        .value_kind:     hidden_block_count_y
      - .offset:         56
        .size:           4
        .value_kind:     hidden_block_count_z
      - .offset:         60
        .size:           2
        .value_kind:     hidden_group_size_x
      - .offset:         62
        .size:           2
        .value_kind:     hidden_group_size_y
      - .offset:         64
        .size:           2
        .value_kind:     hidden_group_size_z
      - .offset:         66
        .size:           2
        .value_kind:     hidden_remainder_x
      - .offset:         68
        .size:           2
        .value_kind:     hidden_remainder_y
      - .offset:         70
        .size:           2
        .value_kind:     hidden_remainder_z
      - .offset:         88
        .size:           8
        .value_kind:     hidden_global_offset_x
      - .offset:         96
        .size:           8
        .value_kind:     hidden_global_offset_y
      - .offset:         104
        .size:           8
        .value_kind:     hidden_global_offset_z
      - .offset:         112
        .size:           2
        .value_kind:     hidden_grid_dims
    .group_segment_fixed_size: 0
    .kernarg_segment_align: 8
    .kernarg_segment_size: 304
    .language:       OpenCL C
    .language_version:
      - 2
      - 0
    .max_flat_workgroup_size: 256
    .name:           _ZL40rocblas_copy_triangular_syrk_herk_kernelILb0ELb0ELb0EdPKPdLi16ELi16EEviT3_ilPT2_i
    .private_segment_fixed_size: 0
    .sgpr_count:     22
    .sgpr_spill_count: 0
    .symbol:         _ZL40rocblas_copy_triangular_syrk_herk_kernelILb0ELb0ELb0EdPKPdLi16ELi16EEviT3_ilPT2_i.kd
    .uniform_work_group_size: 1
    .uses_dynamic_stack: false
    .vgpr_count:     10
    .vgpr_spill_count: 0
    .wavefront_size: 32
  - .args:
      - .offset:         0
        .size:           4
        .value_kind:     by_value
      - .address_space:  global
        .offset:         8
        .size:           8
        .value_kind:     global_buffer
      - .offset:         16
        .size:           4
        .value_kind:     by_value
      - .offset:         24
        .size:           8
        .value_kind:     by_value
      - .address_space:  global
        .offset:         32
        .size:           8
        .value_kind:     global_buffer
      - .offset:         40
        .size:           4
        .value_kind:     by_value
      - .offset:         48
        .size:           4
        .value_kind:     hidden_block_count_x
      - .offset:         52
        .size:           4
        .value_kind:     hidden_block_count_y
      - .offset:         56
        .size:           4
        .value_kind:     hidden_block_count_z
      - .offset:         60
        .size:           2
        .value_kind:     hidden_group_size_x
      - .offset:         62
        .size:           2
        .value_kind:     hidden_group_size_y
      - .offset:         64
        .size:           2
        .value_kind:     hidden_group_size_z
      - .offset:         66
        .size:           2
        .value_kind:     hidden_remainder_x
      - .offset:         68
        .size:           2
        .value_kind:     hidden_remainder_y
      - .offset:         70
        .size:           2
        .value_kind:     hidden_remainder_z
      - .offset:         88
        .size:           8
        .value_kind:     hidden_global_offset_x
      - .offset:         96
        .size:           8
        .value_kind:     hidden_global_offset_y
      - .offset:         104
        .size:           8
        .value_kind:     hidden_global_offset_z
      - .offset:         112
        .size:           2
        .value_kind:     hidden_grid_dims
    .group_segment_fixed_size: 0
    .kernarg_segment_align: 8
    .kernarg_segment_size: 304
    .language:       OpenCL C
    .language_version:
      - 2
      - 0
    .max_flat_workgroup_size: 256
    .name:           _ZL40rocblas_copy_triangular_syrk_herk_kernelILb1ELb1ELb0E19rocblas_complex_numIfEPKPS1_Li16ELi16EEviT3_ilPT2_i
    .private_segment_fixed_size: 0
    .sgpr_count:     22
    .sgpr_spill_count: 0
    .symbol:         _ZL40rocblas_copy_triangular_syrk_herk_kernelILb1ELb1ELb0E19rocblas_complex_numIfEPKPS1_Li16ELi16EEviT3_ilPT2_i.kd
    .uniform_work_group_size: 1
    .uses_dynamic_stack: false
    .vgpr_count:     12
    .vgpr_spill_count: 0
    .wavefront_size: 32
  - .args:
      - .offset:         0
        .size:           4
        .value_kind:     by_value
      - .address_space:  global
        .offset:         8
        .size:           8
        .value_kind:     global_buffer
      - .offset:         16
        .size:           4
        .value_kind:     by_value
      - .offset:         24
        .size:           8
        .value_kind:     by_value
      - .address_space:  global
        .offset:         32
        .size:           8
        .value_kind:     global_buffer
      - .offset:         40
        .size:           4
        .value_kind:     by_value
      - .offset:         48
        .size:           4
        .value_kind:     hidden_block_count_x
      - .offset:         52
        .size:           4
        .value_kind:     hidden_block_count_y
      - .offset:         56
        .size:           4
        .value_kind:     hidden_block_count_z
      - .offset:         60
        .size:           2
        .value_kind:     hidden_group_size_x
      - .offset:         62
        .size:           2
        .value_kind:     hidden_group_size_y
      - .offset:         64
        .size:           2
        .value_kind:     hidden_group_size_z
      - .offset:         66
        .size:           2
        .value_kind:     hidden_remainder_x
      - .offset:         68
        .size:           2
        .value_kind:     hidden_remainder_y
      - .offset:         70
        .size:           2
        .value_kind:     hidden_remainder_z
      - .offset:         88
        .size:           8
        .value_kind:     hidden_global_offset_x
      - .offset:         96
        .size:           8
        .value_kind:     hidden_global_offset_y
      - .offset:         104
        .size:           8
        .value_kind:     hidden_global_offset_z
      - .offset:         112
        .size:           2
        .value_kind:     hidden_grid_dims
    .group_segment_fixed_size: 0
    .kernarg_segment_align: 8
    .kernarg_segment_size: 304
    .language:       OpenCL C
    .language_version:
      - 2
      - 0
    .max_flat_workgroup_size: 256
    .name:           _ZL40rocblas_copy_triangular_syrk_herk_kernelILb1ELb0ELb0E19rocblas_complex_numIfEPKPS1_Li16ELi16EEviT3_ilPT2_i
    .private_segment_fixed_size: 0
    .sgpr_count:     22
    .sgpr_spill_count: 0
    .symbol:         _ZL40rocblas_copy_triangular_syrk_herk_kernelILb1ELb0ELb0E19rocblas_complex_numIfEPKPS1_Li16ELi16EEviT3_ilPT2_i.kd
    .uniform_work_group_size: 1
    .uses_dynamic_stack: false
    .vgpr_count:     12
    .vgpr_spill_count: 0
    .wavefront_size: 32
  - .args:
      - .offset:         0
        .size:           4
        .value_kind:     by_value
      - .address_space:  global
        .offset:         8
        .size:           8
        .value_kind:     global_buffer
      - .offset:         16
        .size:           4
        .value_kind:     by_value
      - .offset:         24
        .size:           8
        .value_kind:     by_value
      - .address_space:  global
        .offset:         32
        .size:           8
        .value_kind:     global_buffer
      - .offset:         40
        .size:           4
        .value_kind:     by_value
      - .offset:         48
        .size:           4
        .value_kind:     hidden_block_count_x
      - .offset:         52
        .size:           4
        .value_kind:     hidden_block_count_y
      - .offset:         56
        .size:           4
        .value_kind:     hidden_block_count_z
      - .offset:         60
        .size:           2
        .value_kind:     hidden_group_size_x
      - .offset:         62
        .size:           2
        .value_kind:     hidden_group_size_y
      - .offset:         64
        .size:           2
        .value_kind:     hidden_group_size_z
      - .offset:         66
        .size:           2
        .value_kind:     hidden_remainder_x
      - .offset:         68
        .size:           2
        .value_kind:     hidden_remainder_y
      - .offset:         70
        .size:           2
        .value_kind:     hidden_remainder_z
      - .offset:         88
        .size:           8
        .value_kind:     hidden_global_offset_x
      - .offset:         96
        .size:           8
        .value_kind:     hidden_global_offset_y
      - .offset:         104
        .size:           8
        .value_kind:     hidden_global_offset_z
      - .offset:         112
        .size:           2
        .value_kind:     hidden_grid_dims
    .group_segment_fixed_size: 0
    .kernarg_segment_align: 8
    .kernarg_segment_size: 304
    .language:       OpenCL C
    .language_version:
      - 2
      - 0
    .max_flat_workgroup_size: 256
    .name:           _ZL40rocblas_copy_triangular_syrk_herk_kernelILb0ELb1ELb0E19rocblas_complex_numIfEPKPS1_Li16ELi16EEviT3_ilPT2_i
    .private_segment_fixed_size: 0
    .sgpr_count:     22
    .sgpr_spill_count: 0
    .symbol:         _ZL40rocblas_copy_triangular_syrk_herk_kernelILb0ELb1ELb0E19rocblas_complex_numIfEPKPS1_Li16ELi16EEviT3_ilPT2_i.kd
    .uniform_work_group_size: 1
    .uses_dynamic_stack: false
    .vgpr_count:     12
    .vgpr_spill_count: 0
    .wavefront_size: 32
  - .args:
      - .offset:         0
        .size:           4
        .value_kind:     by_value
      - .address_space:  global
        .offset:         8
        .size:           8
        .value_kind:     global_buffer
      - .offset:         16
        .size:           4
        .value_kind:     by_value
      - .offset:         24
        .size:           8
        .value_kind:     by_value
      - .address_space:  global
        .offset:         32
        .size:           8
        .value_kind:     global_buffer
      - .offset:         40
        .size:           4
        .value_kind:     by_value
      - .offset:         48
        .size:           4
        .value_kind:     hidden_block_count_x
      - .offset:         52
        .size:           4
        .value_kind:     hidden_block_count_y
      - .offset:         56
        .size:           4
        .value_kind:     hidden_block_count_z
      - .offset:         60
        .size:           2
        .value_kind:     hidden_group_size_x
      - .offset:         62
        .size:           2
        .value_kind:     hidden_group_size_y
      - .offset:         64
        .size:           2
        .value_kind:     hidden_group_size_z
      - .offset:         66
        .size:           2
        .value_kind:     hidden_remainder_x
      - .offset:         68
        .size:           2
        .value_kind:     hidden_remainder_y
      - .offset:         70
        .size:           2
        .value_kind:     hidden_remainder_z
      - .offset:         88
        .size:           8
        .value_kind:     hidden_global_offset_x
      - .offset:         96
        .size:           8
        .value_kind:     hidden_global_offset_y
      - .offset:         104
        .size:           8
        .value_kind:     hidden_global_offset_z
      - .offset:         112
        .size:           2
        .value_kind:     hidden_grid_dims
    .group_segment_fixed_size: 0
    .kernarg_segment_align: 8
    .kernarg_segment_size: 304
    .language:       OpenCL C
    .language_version:
      - 2
      - 0
    .max_flat_workgroup_size: 256
    .name:           _ZL40rocblas_copy_triangular_syrk_herk_kernelILb0ELb0ELb0E19rocblas_complex_numIfEPKPS1_Li16ELi16EEviT3_ilPT2_i
    .private_segment_fixed_size: 0
    .sgpr_count:     22
    .sgpr_spill_count: 0
    .symbol:         _ZL40rocblas_copy_triangular_syrk_herk_kernelILb0ELb0ELb0E19rocblas_complex_numIfEPKPS1_Li16ELi16EEviT3_ilPT2_i.kd
    .uniform_work_group_size: 1
    .uses_dynamic_stack: false
    .vgpr_count:     12
    .vgpr_spill_count: 0
    .wavefront_size: 32
  - .args:
      - .offset:         0
        .size:           4
        .value_kind:     by_value
      - .address_space:  global
        .offset:         8
        .size:           8
        .value_kind:     global_buffer
      - .offset:         16
        .size:           4
        .value_kind:     by_value
      - .offset:         24
        .size:           8
        .value_kind:     by_value
      - .address_space:  global
        .offset:         32
        .size:           8
        .value_kind:     global_buffer
      - .offset:         40
        .size:           4
        .value_kind:     by_value
      - .offset:         48
        .size:           4
        .value_kind:     hidden_block_count_x
      - .offset:         52
        .size:           4
        .value_kind:     hidden_block_count_y
      - .offset:         56
        .size:           4
        .value_kind:     hidden_block_count_z
      - .offset:         60
        .size:           2
        .value_kind:     hidden_group_size_x
      - .offset:         62
        .size:           2
        .value_kind:     hidden_group_size_y
      - .offset:         64
        .size:           2
        .value_kind:     hidden_group_size_z
      - .offset:         66
        .size:           2
        .value_kind:     hidden_remainder_x
      - .offset:         68
        .size:           2
        .value_kind:     hidden_remainder_y
      - .offset:         70
        .size:           2
        .value_kind:     hidden_remainder_z
      - .offset:         88
        .size:           8
        .value_kind:     hidden_global_offset_x
      - .offset:         96
        .size:           8
        .value_kind:     hidden_global_offset_y
      - .offset:         104
        .size:           8
        .value_kind:     hidden_global_offset_z
      - .offset:         112
        .size:           2
        .value_kind:     hidden_grid_dims
    .group_segment_fixed_size: 0
    .kernarg_segment_align: 8
    .kernarg_segment_size: 304
    .language:       OpenCL C
    .language_version:
      - 2
      - 0
    .max_flat_workgroup_size: 256
    .name:           _ZL40rocblas_copy_triangular_syrk_herk_kernelILb1ELb1ELb0E19rocblas_complex_numIdEPKPS1_Li16ELi16EEviT3_ilPT2_i
    .private_segment_fixed_size: 0
    .sgpr_count:     22
    .sgpr_spill_count: 0
    .symbol:         _ZL40rocblas_copy_triangular_syrk_herk_kernelILb1ELb1ELb0E19rocblas_complex_numIdEPKPS1_Li16ELi16EEviT3_ilPT2_i.kd
    .uniform_work_group_size: 1
    .uses_dynamic_stack: false
    .vgpr_count:     14
    .vgpr_spill_count: 0
    .wavefront_size: 32
  - .args:
      - .offset:         0
        .size:           4
        .value_kind:     by_value
      - .address_space:  global
        .offset:         8
        .size:           8
        .value_kind:     global_buffer
      - .offset:         16
        .size:           4
        .value_kind:     by_value
      - .offset:         24
        .size:           8
        .value_kind:     by_value
      - .address_space:  global
        .offset:         32
        .size:           8
        .value_kind:     global_buffer
      - .offset:         40
        .size:           4
        .value_kind:     by_value
      - .offset:         48
        .size:           4
        .value_kind:     hidden_block_count_x
      - .offset:         52
        .size:           4
        .value_kind:     hidden_block_count_y
      - .offset:         56
        .size:           4
        .value_kind:     hidden_block_count_z
      - .offset:         60
        .size:           2
        .value_kind:     hidden_group_size_x
      - .offset:         62
        .size:           2
        .value_kind:     hidden_group_size_y
      - .offset:         64
        .size:           2
        .value_kind:     hidden_group_size_z
      - .offset:         66
        .size:           2
        .value_kind:     hidden_remainder_x
      - .offset:         68
        .size:           2
        .value_kind:     hidden_remainder_y
      - .offset:         70
        .size:           2
        .value_kind:     hidden_remainder_z
      - .offset:         88
        .size:           8
        .value_kind:     hidden_global_offset_x
      - .offset:         96
        .size:           8
        .value_kind:     hidden_global_offset_y
      - .offset:         104
        .size:           8
        .value_kind:     hidden_global_offset_z
      - .offset:         112
        .size:           2
        .value_kind:     hidden_grid_dims
    .group_segment_fixed_size: 0
    .kernarg_segment_align: 8
    .kernarg_segment_size: 304
    .language:       OpenCL C
    .language_version:
      - 2
      - 0
    .max_flat_workgroup_size: 256
    .name:           _ZL40rocblas_copy_triangular_syrk_herk_kernelILb1ELb0ELb0E19rocblas_complex_numIdEPKPS1_Li16ELi16EEviT3_ilPT2_i
    .private_segment_fixed_size: 0
    .sgpr_count:     22
    .sgpr_spill_count: 0
    .symbol:         _ZL40rocblas_copy_triangular_syrk_herk_kernelILb1ELb0ELb0E19rocblas_complex_numIdEPKPS1_Li16ELi16EEviT3_ilPT2_i.kd
    .uniform_work_group_size: 1
    .uses_dynamic_stack: false
    .vgpr_count:     14
    .vgpr_spill_count: 0
    .wavefront_size: 32
  - .args:
      - .offset:         0
        .size:           4
        .value_kind:     by_value
      - .address_space:  global
        .offset:         8
        .size:           8
        .value_kind:     global_buffer
      - .offset:         16
        .size:           4
        .value_kind:     by_value
      - .offset:         24
        .size:           8
        .value_kind:     by_value
      - .address_space:  global
        .offset:         32
        .size:           8
        .value_kind:     global_buffer
      - .offset:         40
        .size:           4
        .value_kind:     by_value
      - .offset:         48
        .size:           4
        .value_kind:     hidden_block_count_x
      - .offset:         52
        .size:           4
        .value_kind:     hidden_block_count_y
      - .offset:         56
        .size:           4
        .value_kind:     hidden_block_count_z
      - .offset:         60
        .size:           2
        .value_kind:     hidden_group_size_x
      - .offset:         62
        .size:           2
        .value_kind:     hidden_group_size_y
      - .offset:         64
        .size:           2
        .value_kind:     hidden_group_size_z
      - .offset:         66
        .size:           2
        .value_kind:     hidden_remainder_x
      - .offset:         68
        .size:           2
        .value_kind:     hidden_remainder_y
      - .offset:         70
        .size:           2
        .value_kind:     hidden_remainder_z
      - .offset:         88
        .size:           8
        .value_kind:     hidden_global_offset_x
      - .offset:         96
        .size:           8
        .value_kind:     hidden_global_offset_y
      - .offset:         104
        .size:           8
        .value_kind:     hidden_global_offset_z
      - .offset:         112
        .size:           2
        .value_kind:     hidden_grid_dims
    .group_segment_fixed_size: 0
    .kernarg_segment_align: 8
    .kernarg_segment_size: 304
    .language:       OpenCL C
    .language_version:
      - 2
      - 0
    .max_flat_workgroup_size: 256
    .name:           _ZL40rocblas_copy_triangular_syrk_herk_kernelILb0ELb1ELb0E19rocblas_complex_numIdEPKPS1_Li16ELi16EEviT3_ilPT2_i
    .private_segment_fixed_size: 0
    .sgpr_count:     22
    .sgpr_spill_count: 0
    .symbol:         _ZL40rocblas_copy_triangular_syrk_herk_kernelILb0ELb1ELb0E19rocblas_complex_numIdEPKPS1_Li16ELi16EEviT3_ilPT2_i.kd
    .uniform_work_group_size: 1
    .uses_dynamic_stack: false
    .vgpr_count:     14
    .vgpr_spill_count: 0
    .wavefront_size: 32
  - .args:
      - .offset:         0
        .size:           4
        .value_kind:     by_value
      - .address_space:  global
        .offset:         8
        .size:           8
        .value_kind:     global_buffer
      - .offset:         16
        .size:           4
        .value_kind:     by_value
      - .offset:         24
        .size:           8
        .value_kind:     by_value
      - .address_space:  global
        .offset:         32
        .size:           8
        .value_kind:     global_buffer
      - .offset:         40
        .size:           4
        .value_kind:     by_value
      - .offset:         48
        .size:           4
        .value_kind:     hidden_block_count_x
      - .offset:         52
        .size:           4
        .value_kind:     hidden_block_count_y
      - .offset:         56
        .size:           4
        .value_kind:     hidden_block_count_z
      - .offset:         60
        .size:           2
        .value_kind:     hidden_group_size_x
      - .offset:         62
        .size:           2
        .value_kind:     hidden_group_size_y
      - .offset:         64
        .size:           2
        .value_kind:     hidden_group_size_z
      - .offset:         66
        .size:           2
        .value_kind:     hidden_remainder_x
      - .offset:         68
        .size:           2
        .value_kind:     hidden_remainder_y
      - .offset:         70
        .size:           2
        .value_kind:     hidden_remainder_z
      - .offset:         88
        .size:           8
        .value_kind:     hidden_global_offset_x
      - .offset:         96
        .size:           8
        .value_kind:     hidden_global_offset_y
      - .offset:         104
        .size:           8
        .value_kind:     hidden_global_offset_z
      - .offset:         112
        .size:           2
        .value_kind:     hidden_grid_dims
    .group_segment_fixed_size: 0
    .kernarg_segment_align: 8
    .kernarg_segment_size: 304
    .language:       OpenCL C
    .language_version:
      - 2
      - 0
    .max_flat_workgroup_size: 256
    .name:           _ZL40rocblas_copy_triangular_syrk_herk_kernelILb0ELb0ELb0E19rocblas_complex_numIdEPKPS1_Li16ELi16EEviT3_ilPT2_i
    .private_segment_fixed_size: 0
    .sgpr_count:     22
    .sgpr_spill_count: 0
    .symbol:         _ZL40rocblas_copy_triangular_syrk_herk_kernelILb0ELb0ELb0E19rocblas_complex_numIdEPKPS1_Li16ELi16EEviT3_ilPT2_i.kd
    .uniform_work_group_size: 1
    .uses_dynamic_stack: false
    .vgpr_count:     14
    .vgpr_spill_count: 0
    .wavefront_size: 32
  - .args:
      - .offset:         0
        .size:           4
        .value_kind:     by_value
      - .address_space:  global
        .offset:         8
        .size:           8
        .value_kind:     global_buffer
      - .offset:         16
        .size:           4
        .value_kind:     by_value
      - .offset:         24
        .size:           8
        .value_kind:     by_value
      - .address_space:  global
        .offset:         32
        .size:           8
        .value_kind:     global_buffer
      - .offset:         40
        .size:           4
        .value_kind:     by_value
      - .offset:         48
        .size:           4
        .value_kind:     hidden_block_count_x
      - .offset:         52
        .size:           4
        .value_kind:     hidden_block_count_y
      - .offset:         56
        .size:           4
        .value_kind:     hidden_block_count_z
      - .offset:         60
        .size:           2
        .value_kind:     hidden_group_size_x
      - .offset:         62
        .size:           2
        .value_kind:     hidden_group_size_y
      - .offset:         64
        .size:           2
        .value_kind:     hidden_group_size_z
      - .offset:         66
        .size:           2
        .value_kind:     hidden_remainder_x
      - .offset:         68
        .size:           2
        .value_kind:     hidden_remainder_y
      - .offset:         70
        .size:           2
        .value_kind:     hidden_remainder_z
      - .offset:         88
        .size:           8
        .value_kind:     hidden_global_offset_x
      - .offset:         96
        .size:           8
        .value_kind:     hidden_global_offset_y
      - .offset:         104
        .size:           8
        .value_kind:     hidden_global_offset_z
      - .offset:         112
        .size:           2
        .value_kind:     hidden_grid_dims
    .group_segment_fixed_size: 0
    .kernarg_segment_align: 8
    .kernarg_segment_size: 304
    .language:       OpenCL C
    .language_version:
      - 2
      - 0
    .max_flat_workgroup_size: 256
    .name:           _ZL40rocblas_copy_triangular_syrk_herk_kernelILb1ELb1ELb1E19rocblas_complex_numIfEPS1_Li16ELi16EEviT3_ilPT2_i
    .private_segment_fixed_size: 0
    .sgpr_count:     23
    .sgpr_spill_count: 0
    .symbol:         _ZL40rocblas_copy_triangular_syrk_herk_kernelILb1ELb1ELb1E19rocblas_complex_numIfEPS1_Li16ELi16EEviT3_ilPT2_i.kd
    .uniform_work_group_size: 1
    .uses_dynamic_stack: false
    .vgpr_count:     9
    .vgpr_spill_count: 0
    .wavefront_size: 32
  - .args:
      - .offset:         0
        .size:           4
        .value_kind:     by_value
      - .address_space:  global
        .offset:         8
        .size:           8
        .value_kind:     global_buffer
      - .offset:         16
        .size:           4
        .value_kind:     by_value
      - .offset:         24
        .size:           8
        .value_kind:     by_value
      - .address_space:  global
        .offset:         32
        .size:           8
        .value_kind:     global_buffer
      - .offset:         40
        .size:           4
        .value_kind:     by_value
      - .offset:         48
        .size:           4
        .value_kind:     hidden_block_count_x
      - .offset:         52
        .size:           4
        .value_kind:     hidden_block_count_y
      - .offset:         56
        .size:           4
        .value_kind:     hidden_block_count_z
      - .offset:         60
        .size:           2
        .value_kind:     hidden_group_size_x
      - .offset:         62
        .size:           2
        .value_kind:     hidden_group_size_y
      - .offset:         64
        .size:           2
        .value_kind:     hidden_group_size_z
      - .offset:         66
        .size:           2
        .value_kind:     hidden_remainder_x
      - .offset:         68
        .size:           2
        .value_kind:     hidden_remainder_y
      - .offset:         70
        .size:           2
        .value_kind:     hidden_remainder_z
      - .offset:         88
        .size:           8
        .value_kind:     hidden_global_offset_x
      - .offset:         96
        .size:           8
        .value_kind:     hidden_global_offset_y
      - .offset:         104
        .size:           8
        .value_kind:     hidden_global_offset_z
      - .offset:         112
        .size:           2
        .value_kind:     hidden_grid_dims
    .group_segment_fixed_size: 0
    .kernarg_segment_align: 8
    .kernarg_segment_size: 304
    .language:       OpenCL C
    .language_version:
      - 2
      - 0
    .max_flat_workgroup_size: 256
    .name:           _ZL40rocblas_copy_triangular_syrk_herk_kernelILb1ELb0ELb1E19rocblas_complex_numIfEPS1_Li16ELi16EEviT3_ilPT2_i
    .private_segment_fixed_size: 0
    .sgpr_count:     23
    .sgpr_spill_count: 0
    .symbol:         _ZL40rocblas_copy_triangular_syrk_herk_kernelILb1ELb0ELb1E19rocblas_complex_numIfEPS1_Li16ELi16EEviT3_ilPT2_i.kd
    .uniform_work_group_size: 1
    .uses_dynamic_stack: false
    .vgpr_count:     10
    .vgpr_spill_count: 0
    .wavefront_size: 32
  - .args:
      - .offset:         0
        .size:           4
        .value_kind:     by_value
      - .address_space:  global
        .offset:         8
        .size:           8
        .value_kind:     global_buffer
      - .offset:         16
        .size:           4
        .value_kind:     by_value
      - .offset:         24
        .size:           8
        .value_kind:     by_value
      - .address_space:  global
        .offset:         32
        .size:           8
        .value_kind:     global_buffer
      - .offset:         40
        .size:           4
        .value_kind:     by_value
      - .offset:         48
        .size:           4
        .value_kind:     hidden_block_count_x
      - .offset:         52
        .size:           4
        .value_kind:     hidden_block_count_y
      - .offset:         56
        .size:           4
        .value_kind:     hidden_block_count_z
      - .offset:         60
        .size:           2
        .value_kind:     hidden_group_size_x
      - .offset:         62
        .size:           2
        .value_kind:     hidden_group_size_y
      - .offset:         64
        .size:           2
        .value_kind:     hidden_group_size_z
      - .offset:         66
        .size:           2
        .value_kind:     hidden_remainder_x
      - .offset:         68
        .size:           2
        .value_kind:     hidden_remainder_y
      - .offset:         70
        .size:           2
        .value_kind:     hidden_remainder_z
      - .offset:         88
        .size:           8
        .value_kind:     hidden_global_offset_x
      - .offset:         96
        .size:           8
        .value_kind:     hidden_global_offset_y
      - .offset:         104
        .size:           8
        .value_kind:     hidden_global_offset_z
      - .offset:         112
        .size:           2
        .value_kind:     hidden_grid_dims
    .group_segment_fixed_size: 0
    .kernarg_segment_align: 8
    .kernarg_segment_size: 304
    .language:       OpenCL C
    .language_version:
      - 2
      - 0
    .max_flat_workgroup_size: 256
    .name:           _ZL40rocblas_copy_triangular_syrk_herk_kernelILb0ELb1ELb1E19rocblas_complex_numIfEPS1_Li16ELi16EEviT3_ilPT2_i
    .private_segment_fixed_size: 0
    .sgpr_count:     24
    .sgpr_spill_count: 0
    .symbol:         _ZL40rocblas_copy_triangular_syrk_herk_kernelILb0ELb1ELb1E19rocblas_complex_numIfEPS1_Li16ELi16EEviT3_ilPT2_i.kd
    .uniform_work_group_size: 1
    .uses_dynamic_stack: false
    .vgpr_count:     14
    .vgpr_spill_count: 0
    .wavefront_size: 32
  - .args:
      - .offset:         0
        .size:           4
        .value_kind:     by_value
      - .address_space:  global
        .offset:         8
        .size:           8
        .value_kind:     global_buffer
      - .offset:         16
        .size:           4
        .value_kind:     by_value
      - .offset:         24
        .size:           8
        .value_kind:     by_value
      - .address_space:  global
        .offset:         32
        .size:           8
        .value_kind:     global_buffer
      - .offset:         40
        .size:           4
        .value_kind:     by_value
      - .offset:         48
        .size:           4
        .value_kind:     hidden_block_count_x
      - .offset:         52
        .size:           4
        .value_kind:     hidden_block_count_y
      - .offset:         56
        .size:           4
        .value_kind:     hidden_block_count_z
      - .offset:         60
        .size:           2
        .value_kind:     hidden_group_size_x
      - .offset:         62
        .size:           2
        .value_kind:     hidden_group_size_y
      - .offset:         64
        .size:           2
        .value_kind:     hidden_group_size_z
      - .offset:         66
        .size:           2
        .value_kind:     hidden_remainder_x
      - .offset:         68
        .size:           2
        .value_kind:     hidden_remainder_y
      - .offset:         70
        .size:           2
        .value_kind:     hidden_remainder_z
      - .offset:         88
        .size:           8
        .value_kind:     hidden_global_offset_x
      - .offset:         96
        .size:           8
        .value_kind:     hidden_global_offset_y
      - .offset:         104
        .size:           8
        .value_kind:     hidden_global_offset_z
      - .offset:         112
        .size:           2
        .value_kind:     hidden_grid_dims
    .group_segment_fixed_size: 0
    .kernarg_segment_align: 8
    .kernarg_segment_size: 304
    .language:       OpenCL C
    .language_version:
      - 2
      - 0
    .max_flat_workgroup_size: 256
    .name:           _ZL40rocblas_copy_triangular_syrk_herk_kernelILb0ELb0ELb1E19rocblas_complex_numIfEPS1_Li16ELi16EEviT3_ilPT2_i
    .private_segment_fixed_size: 0
    .sgpr_count:     24
    .sgpr_spill_count: 0
    .symbol:         _ZL40rocblas_copy_triangular_syrk_herk_kernelILb0ELb0ELb1E19rocblas_complex_numIfEPS1_Li16ELi16EEviT3_ilPT2_i.kd
    .uniform_work_group_size: 1
    .uses_dynamic_stack: false
    .vgpr_count:     14
    .vgpr_spill_count: 0
    .wavefront_size: 32
  - .args:
      - .offset:         0
        .size:           4
        .value_kind:     by_value
      - .address_space:  global
        .offset:         8
        .size:           8
        .value_kind:     global_buffer
      - .offset:         16
        .size:           4
        .value_kind:     by_value
      - .offset:         24
        .size:           8
        .value_kind:     by_value
      - .address_space:  global
        .offset:         32
        .size:           8
        .value_kind:     global_buffer
      - .offset:         40
        .size:           4
        .value_kind:     by_value
      - .offset:         48
        .size:           4
        .value_kind:     hidden_block_count_x
      - .offset:         52
        .size:           4
        .value_kind:     hidden_block_count_y
      - .offset:         56
        .size:           4
        .value_kind:     hidden_block_count_z
      - .offset:         60
        .size:           2
        .value_kind:     hidden_group_size_x
      - .offset:         62
        .size:           2
        .value_kind:     hidden_group_size_y
      - .offset:         64
        .size:           2
        .value_kind:     hidden_group_size_z
      - .offset:         66
        .size:           2
        .value_kind:     hidden_remainder_x
      - .offset:         68
        .size:           2
        .value_kind:     hidden_remainder_y
      - .offset:         70
        .size:           2
        .value_kind:     hidden_remainder_z
      - .offset:         88
        .size:           8
        .value_kind:     hidden_global_offset_x
      - .offset:         96
        .size:           8
        .value_kind:     hidden_global_offset_y
      - .offset:         104
        .size:           8
        .value_kind:     hidden_global_offset_z
      - .offset:         112
        .size:           2
        .value_kind:     hidden_grid_dims
    .group_segment_fixed_size: 0
    .kernarg_segment_align: 8
    .kernarg_segment_size: 304
    .language:       OpenCL C
    .language_version:
      - 2
      - 0
    .max_flat_workgroup_size: 256
    .name:           _ZL40rocblas_copy_triangular_syrk_herk_kernelILb1ELb1ELb1E19rocblas_complex_numIdEPS1_Li16ELi16EEviT3_ilPT2_i
    .private_segment_fixed_size: 0
    .sgpr_count:     23
    .sgpr_spill_count: 0
    .symbol:         _ZL40rocblas_copy_triangular_syrk_herk_kernelILb1ELb1ELb1E19rocblas_complex_numIdEPS1_Li16ELi16EEviT3_ilPT2_i.kd
    .uniform_work_group_size: 1
    .uses_dynamic_stack: false
    .vgpr_count:     10
    .vgpr_spill_count: 0
    .wavefront_size: 32
  - .args:
      - .offset:         0
        .size:           4
        .value_kind:     by_value
      - .address_space:  global
        .offset:         8
        .size:           8
        .value_kind:     global_buffer
      - .offset:         16
        .size:           4
        .value_kind:     by_value
      - .offset:         24
        .size:           8
        .value_kind:     by_value
      - .address_space:  global
        .offset:         32
        .size:           8
        .value_kind:     global_buffer
      - .offset:         40
        .size:           4
        .value_kind:     by_value
      - .offset:         48
        .size:           4
        .value_kind:     hidden_block_count_x
      - .offset:         52
        .size:           4
        .value_kind:     hidden_block_count_y
      - .offset:         56
        .size:           4
        .value_kind:     hidden_block_count_z
      - .offset:         60
        .size:           2
        .value_kind:     hidden_group_size_x
      - .offset:         62
        .size:           2
        .value_kind:     hidden_group_size_y
      - .offset:         64
        .size:           2
        .value_kind:     hidden_group_size_z
      - .offset:         66
        .size:           2
        .value_kind:     hidden_remainder_x
      - .offset:         68
        .size:           2
        .value_kind:     hidden_remainder_y
      - .offset:         70
        .size:           2
        .value_kind:     hidden_remainder_z
      - .offset:         88
        .size:           8
        .value_kind:     hidden_global_offset_x
      - .offset:         96
        .size:           8
        .value_kind:     hidden_global_offset_y
      - .offset:         104
        .size:           8
        .value_kind:     hidden_global_offset_z
      - .offset:         112
        .size:           2
        .value_kind:     hidden_grid_dims
    .group_segment_fixed_size: 0
    .kernarg_segment_align: 8
    .kernarg_segment_size: 304
    .language:       OpenCL C
    .language_version:
      - 2
      - 0
    .max_flat_workgroup_size: 256
    .name:           _ZL40rocblas_copy_triangular_syrk_herk_kernelILb1ELb0ELb1E19rocblas_complex_numIdEPS1_Li16ELi16EEviT3_ilPT2_i
    .private_segment_fixed_size: 0
    .sgpr_count:     23
    .sgpr_spill_count: 0
    .symbol:         _ZL40rocblas_copy_triangular_syrk_herk_kernelILb1ELb0ELb1E19rocblas_complex_numIdEPS1_Li16ELi16EEviT3_ilPT2_i.kd
    .uniform_work_group_size: 1
    .uses_dynamic_stack: false
    .vgpr_count:     10
    .vgpr_spill_count: 0
    .wavefront_size: 32
  - .args:
      - .offset:         0
        .size:           4
        .value_kind:     by_value
      - .address_space:  global
        .offset:         8
        .size:           8
        .value_kind:     global_buffer
      - .offset:         16
        .size:           4
        .value_kind:     by_value
      - .offset:         24
        .size:           8
        .value_kind:     by_value
      - .address_space:  global
        .offset:         32
        .size:           8
        .value_kind:     global_buffer
      - .offset:         40
        .size:           4
        .value_kind:     by_value
      - .offset:         48
        .size:           4
        .value_kind:     hidden_block_count_x
      - .offset:         52
        .size:           4
        .value_kind:     hidden_block_count_y
      - .offset:         56
        .size:           4
        .value_kind:     hidden_block_count_z
      - .offset:         60
        .size:           2
        .value_kind:     hidden_group_size_x
      - .offset:         62
        .size:           2
        .value_kind:     hidden_group_size_y
      - .offset:         64
        .size:           2
        .value_kind:     hidden_group_size_z
      - .offset:         66
        .size:           2
        .value_kind:     hidden_remainder_x
      - .offset:         68
        .size:           2
        .value_kind:     hidden_remainder_y
      - .offset:         70
        .size:           2
        .value_kind:     hidden_remainder_z
      - .offset:         88
        .size:           8
        .value_kind:     hidden_global_offset_x
      - .offset:         96
        .size:           8
        .value_kind:     hidden_global_offset_y
      - .offset:         104
        .size:           8
        .value_kind:     hidden_global_offset_z
      - .offset:         112
        .size:           2
        .value_kind:     hidden_grid_dims
    .group_segment_fixed_size: 0
    .kernarg_segment_align: 8
    .kernarg_segment_size: 304
    .language:       OpenCL C
    .language_version:
      - 2
      - 0
    .max_flat_workgroup_size: 256
    .name:           _ZL40rocblas_copy_triangular_syrk_herk_kernelILb0ELb1ELb1E19rocblas_complex_numIdEPS1_Li16ELi16EEviT3_ilPT2_i
    .private_segment_fixed_size: 0
    .sgpr_count:     24
    .sgpr_spill_count: 0
    .symbol:         _ZL40rocblas_copy_triangular_syrk_herk_kernelILb0ELb1ELb1E19rocblas_complex_numIdEPS1_Li16ELi16EEviT3_ilPT2_i.kd
    .uniform_work_group_size: 1
    .uses_dynamic_stack: false
    .vgpr_count:     16
    .vgpr_spill_count: 0
    .wavefront_size: 32
  - .args:
      - .offset:         0
        .size:           4
        .value_kind:     by_value
      - .address_space:  global
        .offset:         8
        .size:           8
        .value_kind:     global_buffer
      - .offset:         16
        .size:           4
        .value_kind:     by_value
      - .offset:         24
        .size:           8
        .value_kind:     by_value
      - .address_space:  global
        .offset:         32
        .size:           8
        .value_kind:     global_buffer
      - .offset:         40
        .size:           4
        .value_kind:     by_value
      - .offset:         48
        .size:           4
        .value_kind:     hidden_block_count_x
      - .offset:         52
        .size:           4
        .value_kind:     hidden_block_count_y
      - .offset:         56
        .size:           4
        .value_kind:     hidden_block_count_z
      - .offset:         60
        .size:           2
        .value_kind:     hidden_group_size_x
      - .offset:         62
        .size:           2
        .value_kind:     hidden_group_size_y
      - .offset:         64
        .size:           2
        .value_kind:     hidden_group_size_z
      - .offset:         66
        .size:           2
        .value_kind:     hidden_remainder_x
      - .offset:         68
        .size:           2
        .value_kind:     hidden_remainder_y
      - .offset:         70
        .size:           2
        .value_kind:     hidden_remainder_z
      - .offset:         88
        .size:           8
        .value_kind:     hidden_global_offset_x
      - .offset:         96
        .size:           8
        .value_kind:     hidden_global_offset_y
      - .offset:         104
        .size:           8
        .value_kind:     hidden_global_offset_z
      - .offset:         112
        .size:           2
        .value_kind:     hidden_grid_dims
    .group_segment_fixed_size: 0
    .kernarg_segment_align: 8
    .kernarg_segment_size: 304
    .language:       OpenCL C
    .language_version:
      - 2
      - 0
    .max_flat_workgroup_size: 256
    .name:           _ZL40rocblas_copy_triangular_syrk_herk_kernelILb0ELb0ELb1E19rocblas_complex_numIdEPS1_Li16ELi16EEviT3_ilPT2_i
    .private_segment_fixed_size: 0
    .sgpr_count:     24
    .sgpr_spill_count: 0
    .symbol:         _ZL40rocblas_copy_triangular_syrk_herk_kernelILb0ELb0ELb1E19rocblas_complex_numIdEPS1_Li16ELi16EEviT3_ilPT2_i.kd
    .uniform_work_group_size: 1
    .uses_dynamic_stack: false
    .vgpr_count:     16
    .vgpr_spill_count: 0
    .wavefront_size: 32
  - .args:
      - .offset:         0
        .size:           4
        .value_kind:     by_value
      - .address_space:  global
        .offset:         8
        .size:           8
        .value_kind:     global_buffer
      - .offset:         16
        .size:           4
        .value_kind:     by_value
      - .offset:         24
        .size:           8
        .value_kind:     by_value
      - .address_space:  global
        .offset:         32
        .size:           8
        .value_kind:     global_buffer
      - .offset:         40
        .size:           4
        .value_kind:     by_value
      - .offset:         48
        .size:           4
        .value_kind:     hidden_block_count_x
      - .offset:         52
        .size:           4
        .value_kind:     hidden_block_count_y
      - .offset:         56
        .size:           4
        .value_kind:     hidden_block_count_z
      - .offset:         60
        .size:           2
        .value_kind:     hidden_group_size_x
      - .offset:         62
        .size:           2
        .value_kind:     hidden_group_size_y
      - .offset:         64
        .size:           2
        .value_kind:     hidden_group_size_z
      - .offset:         66
        .size:           2
        .value_kind:     hidden_remainder_x
      - .offset:         68
        .size:           2
        .value_kind:     hidden_remainder_y
      - .offset:         70
        .size:           2
        .value_kind:     hidden_remainder_z
      - .offset:         88
        .size:           8
        .value_kind:     hidden_global_offset_x
      - .offset:         96
        .size:           8
        .value_kind:     hidden_global_offset_y
      - .offset:         104
        .size:           8
        .value_kind:     hidden_global_offset_z
      - .offset:         112
        .size:           2
        .value_kind:     hidden_grid_dims
    .group_segment_fixed_size: 0
    .kernarg_segment_align: 8
    .kernarg_segment_size: 304
    .language:       OpenCL C
    .language_version:
      - 2
      - 0
    .max_flat_workgroup_size: 256
    .name:           _ZL40rocblas_copy_triangular_syrk_herk_kernelILb1ELb1ELb1E19rocblas_complex_numIfEPKPS1_Li16ELi16EEviT3_ilPT2_i
    .private_segment_fixed_size: 0
    .sgpr_count:     22
    .sgpr_spill_count: 0
    .symbol:         _ZL40rocblas_copy_triangular_syrk_herk_kernelILb1ELb1ELb1E19rocblas_complex_numIfEPKPS1_Li16ELi16EEviT3_ilPT2_i.kd
    .uniform_work_group_size: 1
    .uses_dynamic_stack: false
    .vgpr_count:     12
    .vgpr_spill_count: 0
    .wavefront_size: 32
  - .args:
      - .offset:         0
        .size:           4
        .value_kind:     by_value
      - .address_space:  global
        .offset:         8
        .size:           8
        .value_kind:     global_buffer
      - .offset:         16
        .size:           4
        .value_kind:     by_value
      - .offset:         24
        .size:           8
        .value_kind:     by_value
      - .address_space:  global
        .offset:         32
        .size:           8
        .value_kind:     global_buffer
      - .offset:         40
        .size:           4
        .value_kind:     by_value
      - .offset:         48
        .size:           4
        .value_kind:     hidden_block_count_x
      - .offset:         52
        .size:           4
        .value_kind:     hidden_block_count_y
      - .offset:         56
        .size:           4
        .value_kind:     hidden_block_count_z
      - .offset:         60
        .size:           2
        .value_kind:     hidden_group_size_x
      - .offset:         62
        .size:           2
        .value_kind:     hidden_group_size_y
      - .offset:         64
        .size:           2
        .value_kind:     hidden_group_size_z
      - .offset:         66
        .size:           2
        .value_kind:     hidden_remainder_x
      - .offset:         68
        .size:           2
        .value_kind:     hidden_remainder_y
      - .offset:         70
        .size:           2
        .value_kind:     hidden_remainder_z
      - .offset:         88
        .size:           8
        .value_kind:     hidden_global_offset_x
      - .offset:         96
        .size:           8
        .value_kind:     hidden_global_offset_y
      - .offset:         104
        .size:           8
        .value_kind:     hidden_global_offset_z
      - .offset:         112
        .size:           2
        .value_kind:     hidden_grid_dims
    .group_segment_fixed_size: 0
    .kernarg_segment_align: 8
    .kernarg_segment_size: 304
    .language:       OpenCL C
    .language_version:
      - 2
      - 0
    .max_flat_workgroup_size: 256
    .name:           _ZL40rocblas_copy_triangular_syrk_herk_kernelILb1ELb0ELb1E19rocblas_complex_numIfEPKPS1_Li16ELi16EEviT3_ilPT2_i
    .private_segment_fixed_size: 0
    .sgpr_count:     22
    .sgpr_spill_count: 0
    .symbol:         _ZL40rocblas_copy_triangular_syrk_herk_kernelILb1ELb0ELb1E19rocblas_complex_numIfEPKPS1_Li16ELi16EEviT3_ilPT2_i.kd
    .uniform_work_group_size: 1
    .uses_dynamic_stack: false
    .vgpr_count:     12
    .vgpr_spill_count: 0
    .wavefront_size: 32
  - .args:
      - .offset:         0
        .size:           4
        .value_kind:     by_value
      - .address_space:  global
        .offset:         8
        .size:           8
        .value_kind:     global_buffer
      - .offset:         16
        .size:           4
        .value_kind:     by_value
      - .offset:         24
        .size:           8
        .value_kind:     by_value
      - .address_space:  global
        .offset:         32
        .size:           8
        .value_kind:     global_buffer
      - .offset:         40
        .size:           4
        .value_kind:     by_value
      - .offset:         48
        .size:           4
        .value_kind:     hidden_block_count_x
      - .offset:         52
        .size:           4
        .value_kind:     hidden_block_count_y
      - .offset:         56
        .size:           4
        .value_kind:     hidden_block_count_z
      - .offset:         60
        .size:           2
        .value_kind:     hidden_group_size_x
      - .offset:         62
        .size:           2
        .value_kind:     hidden_group_size_y
      - .offset:         64
        .size:           2
        .value_kind:     hidden_group_size_z
      - .offset:         66
        .size:           2
        .value_kind:     hidden_remainder_x
      - .offset:         68
        .size:           2
        .value_kind:     hidden_remainder_y
      - .offset:         70
        .size:           2
        .value_kind:     hidden_remainder_z
      - .offset:         88
        .size:           8
        .value_kind:     hidden_global_offset_x
      - .offset:         96
        .size:           8
        .value_kind:     hidden_global_offset_y
      - .offset:         104
        .size:           8
        .value_kind:     hidden_global_offset_z
      - .offset:         112
        .size:           2
        .value_kind:     hidden_grid_dims
    .group_segment_fixed_size: 0
    .kernarg_segment_align: 8
    .kernarg_segment_size: 304
    .language:       OpenCL C
    .language_version:
      - 2
      - 0
    .max_flat_workgroup_size: 256
    .name:           _ZL40rocblas_copy_triangular_syrk_herk_kernelILb0ELb1ELb1E19rocblas_complex_numIfEPKPS1_Li16ELi16EEviT3_ilPT2_i
    .private_segment_fixed_size: 0
    .sgpr_count:     22
    .sgpr_spill_count: 0
    .symbol:         _ZL40rocblas_copy_triangular_syrk_herk_kernelILb0ELb1ELb1E19rocblas_complex_numIfEPKPS1_Li16ELi16EEviT3_ilPT2_i.kd
    .uniform_work_group_size: 1
    .uses_dynamic_stack: false
    .vgpr_count:     16
    .vgpr_spill_count: 0
    .wavefront_size: 32
  - .args:
      - .offset:         0
        .size:           4
        .value_kind:     by_value
      - .address_space:  global
        .offset:         8
        .size:           8
        .value_kind:     global_buffer
      - .offset:         16
        .size:           4
        .value_kind:     by_value
      - .offset:         24
        .size:           8
        .value_kind:     by_value
      - .address_space:  global
        .offset:         32
        .size:           8
        .value_kind:     global_buffer
      - .offset:         40
        .size:           4
        .value_kind:     by_value
      - .offset:         48
        .size:           4
        .value_kind:     hidden_block_count_x
      - .offset:         52
        .size:           4
        .value_kind:     hidden_block_count_y
      - .offset:         56
        .size:           4
        .value_kind:     hidden_block_count_z
      - .offset:         60
        .size:           2
        .value_kind:     hidden_group_size_x
      - .offset:         62
        .size:           2
        .value_kind:     hidden_group_size_y
      - .offset:         64
        .size:           2
        .value_kind:     hidden_group_size_z
      - .offset:         66
        .size:           2
        .value_kind:     hidden_remainder_x
      - .offset:         68
        .size:           2
        .value_kind:     hidden_remainder_y
      - .offset:         70
        .size:           2
        .value_kind:     hidden_remainder_z
      - .offset:         88
        .size:           8
        .value_kind:     hidden_global_offset_x
      - .offset:         96
        .size:           8
        .value_kind:     hidden_global_offset_y
      - .offset:         104
        .size:           8
        .value_kind:     hidden_global_offset_z
      - .offset:         112
        .size:           2
        .value_kind:     hidden_grid_dims
    .group_segment_fixed_size: 0
    .kernarg_segment_align: 8
    .kernarg_segment_size: 304
    .language:       OpenCL C
    .language_version:
      - 2
      - 0
    .max_flat_workgroup_size: 256
    .name:           _ZL40rocblas_copy_triangular_syrk_herk_kernelILb0ELb0ELb1E19rocblas_complex_numIfEPKPS1_Li16ELi16EEviT3_ilPT2_i
    .private_segment_fixed_size: 0
    .sgpr_count:     22
    .sgpr_spill_count: 0
    .symbol:         _ZL40rocblas_copy_triangular_syrk_herk_kernelILb0ELb0ELb1E19rocblas_complex_numIfEPKPS1_Li16ELi16EEviT3_ilPT2_i.kd
    .uniform_work_group_size: 1
    .uses_dynamic_stack: false
    .vgpr_count:     16
    .vgpr_spill_count: 0
    .wavefront_size: 32
  - .args:
      - .offset:         0
        .size:           4
        .value_kind:     by_value
      - .address_space:  global
        .offset:         8
        .size:           8
        .value_kind:     global_buffer
      - .offset:         16
        .size:           4
        .value_kind:     by_value
      - .offset:         24
        .size:           8
        .value_kind:     by_value
      - .address_space:  global
        .offset:         32
        .size:           8
        .value_kind:     global_buffer
      - .offset:         40
        .size:           4
        .value_kind:     by_value
      - .offset:         48
        .size:           4
        .value_kind:     hidden_block_count_x
      - .offset:         52
        .size:           4
        .value_kind:     hidden_block_count_y
      - .offset:         56
        .size:           4
        .value_kind:     hidden_block_count_z
      - .offset:         60
        .size:           2
        .value_kind:     hidden_group_size_x
      - .offset:         62
        .size:           2
        .value_kind:     hidden_group_size_y
      - .offset:         64
        .size:           2
        .value_kind:     hidden_group_size_z
      - .offset:         66
        .size:           2
        .value_kind:     hidden_remainder_x
      - .offset:         68
        .size:           2
        .value_kind:     hidden_remainder_y
      - .offset:         70
        .size:           2
        .value_kind:     hidden_remainder_z
      - .offset:         88
        .size:           8
        .value_kind:     hidden_global_offset_x
      - .offset:         96
        .size:           8
        .value_kind:     hidden_global_offset_y
      - .offset:         104
        .size:           8
        .value_kind:     hidden_global_offset_z
      - .offset:         112
        .size:           2
        .value_kind:     hidden_grid_dims
    .group_segment_fixed_size: 0
    .kernarg_segment_align: 8
    .kernarg_segment_size: 304
    .language:       OpenCL C
    .language_version:
      - 2
      - 0
    .max_flat_workgroup_size: 256
    .name:           _ZL40rocblas_copy_triangular_syrk_herk_kernelILb1ELb1ELb1E19rocblas_complex_numIdEPKPS1_Li16ELi16EEviT3_ilPT2_i
    .private_segment_fixed_size: 0
    .sgpr_count:     22
    .sgpr_spill_count: 0
    .symbol:         _ZL40rocblas_copy_triangular_syrk_herk_kernelILb1ELb1ELb1E19rocblas_complex_numIdEPKPS1_Li16ELi16EEviT3_ilPT2_i.kd
    .uniform_work_group_size: 1
    .uses_dynamic_stack: false
    .vgpr_count:     14
    .vgpr_spill_count: 0
    .wavefront_size: 32
  - .args:
      - .offset:         0
        .size:           4
        .value_kind:     by_value
      - .address_space:  global
        .offset:         8
        .size:           8
        .value_kind:     global_buffer
      - .offset:         16
        .size:           4
        .value_kind:     by_value
      - .offset:         24
        .size:           8
        .value_kind:     by_value
      - .address_space:  global
        .offset:         32
        .size:           8
        .value_kind:     global_buffer
      - .offset:         40
        .size:           4
        .value_kind:     by_value
      - .offset:         48
        .size:           4
        .value_kind:     hidden_block_count_x
      - .offset:         52
        .size:           4
        .value_kind:     hidden_block_count_y
      - .offset:         56
        .size:           4
        .value_kind:     hidden_block_count_z
      - .offset:         60
        .size:           2
        .value_kind:     hidden_group_size_x
      - .offset:         62
        .size:           2
        .value_kind:     hidden_group_size_y
      - .offset:         64
        .size:           2
        .value_kind:     hidden_group_size_z
      - .offset:         66
        .size:           2
        .value_kind:     hidden_remainder_x
      - .offset:         68
        .size:           2
        .value_kind:     hidden_remainder_y
      - .offset:         70
        .size:           2
        .value_kind:     hidden_remainder_z
      - .offset:         88
        .size:           8
        .value_kind:     hidden_global_offset_x
      - .offset:         96
        .size:           8
        .value_kind:     hidden_global_offset_y
      - .offset:         104
        .size:           8
        .value_kind:     hidden_global_offset_z
      - .offset:         112
        .size:           2
        .value_kind:     hidden_grid_dims
    .group_segment_fixed_size: 0
    .kernarg_segment_align: 8
    .kernarg_segment_size: 304
    .language:       OpenCL C
    .language_version:
      - 2
      - 0
    .max_flat_workgroup_size: 256
    .name:           _ZL40rocblas_copy_triangular_syrk_herk_kernelILb1ELb0ELb1E19rocblas_complex_numIdEPKPS1_Li16ELi16EEviT3_ilPT2_i
    .private_segment_fixed_size: 0
    .sgpr_count:     22
    .sgpr_spill_count: 0
    .symbol:         _ZL40rocblas_copy_triangular_syrk_herk_kernelILb1ELb0ELb1E19rocblas_complex_numIdEPKPS1_Li16ELi16EEviT3_ilPT2_i.kd
    .uniform_work_group_size: 1
    .uses_dynamic_stack: false
    .vgpr_count:     14
    .vgpr_spill_count: 0
    .wavefront_size: 32
  - .args:
      - .offset:         0
        .size:           4
        .value_kind:     by_value
      - .address_space:  global
        .offset:         8
        .size:           8
        .value_kind:     global_buffer
      - .offset:         16
        .size:           4
        .value_kind:     by_value
      - .offset:         24
        .size:           8
        .value_kind:     by_value
      - .address_space:  global
        .offset:         32
        .size:           8
        .value_kind:     global_buffer
      - .offset:         40
        .size:           4
        .value_kind:     by_value
      - .offset:         48
        .size:           4
        .value_kind:     hidden_block_count_x
      - .offset:         52
        .size:           4
        .value_kind:     hidden_block_count_y
      - .offset:         56
        .size:           4
        .value_kind:     hidden_block_count_z
      - .offset:         60
        .size:           2
        .value_kind:     hidden_group_size_x
      - .offset:         62
        .size:           2
        .value_kind:     hidden_group_size_y
      - .offset:         64
        .size:           2
        .value_kind:     hidden_group_size_z
      - .offset:         66
        .size:           2
        .value_kind:     hidden_remainder_x
      - .offset:         68
        .size:           2
        .value_kind:     hidden_remainder_y
      - .offset:         70
        .size:           2
        .value_kind:     hidden_remainder_z
      - .offset:         88
        .size:           8
        .value_kind:     hidden_global_offset_x
      - .offset:         96
        .size:           8
        .value_kind:     hidden_global_offset_y
      - .offset:         104
        .size:           8
        .value_kind:     hidden_global_offset_z
      - .offset:         112
        .size:           2
        .value_kind:     hidden_grid_dims
    .group_segment_fixed_size: 0
    .kernarg_segment_align: 8
    .kernarg_segment_size: 304
    .language:       OpenCL C
    .language_version:
      - 2
      - 0
    .max_flat_workgroup_size: 256
    .name:           _ZL40rocblas_copy_triangular_syrk_herk_kernelILb0ELb1ELb1E19rocblas_complex_numIdEPKPS1_Li16ELi16EEviT3_ilPT2_i
    .private_segment_fixed_size: 0
    .sgpr_count:     22
    .sgpr_spill_count: 0
    .symbol:         _ZL40rocblas_copy_triangular_syrk_herk_kernelILb0ELb1ELb1E19rocblas_complex_numIdEPKPS1_Li16ELi16EEviT3_ilPT2_i.kd
    .uniform_work_group_size: 1
    .uses_dynamic_stack: false
    .vgpr_count:     18
    .vgpr_spill_count: 0
    .wavefront_size: 32
  - .args:
      - .offset:         0
        .size:           4
        .value_kind:     by_value
      - .address_space:  global
        .offset:         8
        .size:           8
        .value_kind:     global_buffer
      - .offset:         16
        .size:           4
        .value_kind:     by_value
      - .offset:         24
        .size:           8
        .value_kind:     by_value
      - .address_space:  global
        .offset:         32
        .size:           8
        .value_kind:     global_buffer
      - .offset:         40
        .size:           4
        .value_kind:     by_value
      - .offset:         48
        .size:           4
        .value_kind:     hidden_block_count_x
      - .offset:         52
        .size:           4
        .value_kind:     hidden_block_count_y
      - .offset:         56
        .size:           4
        .value_kind:     hidden_block_count_z
      - .offset:         60
        .size:           2
        .value_kind:     hidden_group_size_x
      - .offset:         62
        .size:           2
        .value_kind:     hidden_group_size_y
      - .offset:         64
        .size:           2
        .value_kind:     hidden_group_size_z
      - .offset:         66
        .size:           2
        .value_kind:     hidden_remainder_x
      - .offset:         68
        .size:           2
        .value_kind:     hidden_remainder_y
      - .offset:         70
        .size:           2
        .value_kind:     hidden_remainder_z
      - .offset:         88
        .size:           8
        .value_kind:     hidden_global_offset_x
      - .offset:         96
        .size:           8
        .value_kind:     hidden_global_offset_y
      - .offset:         104
        .size:           8
        .value_kind:     hidden_global_offset_z
      - .offset:         112
        .size:           2
        .value_kind:     hidden_grid_dims
    .group_segment_fixed_size: 0
    .kernarg_segment_align: 8
    .kernarg_segment_size: 304
    .language:       OpenCL C
    .language_version:
      - 2
      - 0
    .max_flat_workgroup_size: 256
    .name:           _ZL40rocblas_copy_triangular_syrk_herk_kernelILb0ELb0ELb1E19rocblas_complex_numIdEPKPS1_Li16ELi16EEviT3_ilPT2_i
    .private_segment_fixed_size: 0
    .sgpr_count:     22
    .sgpr_spill_count: 0
    .symbol:         _ZL40rocblas_copy_triangular_syrk_herk_kernelILb0ELb0ELb1E19rocblas_complex_numIdEPKPS1_Li16ELi16EEviT3_ilPT2_i.kd
    .uniform_work_group_size: 1
    .uses_dynamic_stack: false
    .vgpr_count:     18
    .vgpr_spill_count: 0
    .wavefront_size: 32
amdhsa.target:   amdgcn-amd-amdhsa--gfx1250
amdhsa.version:
  - 1
  - 2
...

	.end_amdgpu_metadata
